;; amdgpu-corpus repo=ROCm/rocFFT kind=compiled arch=gfx1030 opt=O3
	.text
	.amdgcn_target "amdgcn-amd-amdhsa--gfx1030"
	.amdhsa_code_object_version 6
	.protected	fft_rtc_back_len1680_factors_2_2_2_2_3_7_5_wgs_112_tpt_112_halfLds_dp_op_CI_CI_unitstride_sbrr_R2C_dirReg ; -- Begin function fft_rtc_back_len1680_factors_2_2_2_2_3_7_5_wgs_112_tpt_112_halfLds_dp_op_CI_CI_unitstride_sbrr_R2C_dirReg
	.globl	fft_rtc_back_len1680_factors_2_2_2_2_3_7_5_wgs_112_tpt_112_halfLds_dp_op_CI_CI_unitstride_sbrr_R2C_dirReg
	.p2align	8
	.type	fft_rtc_back_len1680_factors_2_2_2_2_3_7_5_wgs_112_tpt_112_halfLds_dp_op_CI_CI_unitstride_sbrr_R2C_dirReg,@function
fft_rtc_back_len1680_factors_2_2_2_2_3_7_5_wgs_112_tpt_112_halfLds_dp_op_CI_CI_unitstride_sbrr_R2C_dirReg: ; @fft_rtc_back_len1680_factors_2_2_2_2_3_7_5_wgs_112_tpt_112_halfLds_dp_op_CI_CI_unitstride_sbrr_R2C_dirReg
; %bb.0:
	s_clause 0x2
	s_load_dwordx4 s[12:15], s[4:5], 0x0
	s_load_dwordx4 s[8:11], s[4:5], 0x58
	;; [unrolled: 1-line block ×3, first 2 shown]
	v_mul_u32_u24_e32 v1, 0x24a, v0
	v_mov_b32_e32 v3, 0
	v_add_nc_u32_sdwa v5, s6, v1 dst_sel:DWORD dst_unused:UNUSED_PAD src0_sel:DWORD src1_sel:WORD_1
	v_mov_b32_e32 v1, 0
	v_mov_b32_e32 v6, v3
	v_mov_b32_e32 v2, 0
	s_waitcnt lgkmcnt(0)
	v_cmp_lt_u64_e64 s0, s[14:15], 2
	s_and_b32 vcc_lo, exec_lo, s0
	s_cbranch_vccnz .LBB0_8
; %bb.1:
	s_load_dwordx2 s[0:1], s[4:5], 0x10
	v_mov_b32_e32 v1, 0
	v_mov_b32_e32 v2, 0
	s_add_u32 s2, s18, 8
	s_addc_u32 s3, s19, 0
	s_add_u32 s6, s16, 8
	s_addc_u32 s7, s17, 0
	v_mov_b32_e32 v85, v2
	v_mov_b32_e32 v84, v1
	s_mov_b64 s[22:23], 1
	s_waitcnt lgkmcnt(0)
	s_add_u32 s20, s0, 8
	s_addc_u32 s21, s1, 0
.LBB0_2:                                ; =>This Inner Loop Header: Depth=1
	s_load_dwordx2 s[24:25], s[20:21], 0x0
                                        ; implicit-def: $vgpr88_vgpr89
	s_mov_b32 s0, exec_lo
	s_waitcnt lgkmcnt(0)
	v_or_b32_e32 v4, s25, v6
	v_cmpx_ne_u64_e32 0, v[3:4]
	s_xor_b32 s1, exec_lo, s0
	s_cbranch_execz .LBB0_4
; %bb.3:                                ;   in Loop: Header=BB0_2 Depth=1
	v_cvt_f32_u32_e32 v4, s24
	v_cvt_f32_u32_e32 v7, s25
	s_sub_u32 s0, 0, s24
	s_subb_u32 s26, 0, s25
	v_fmac_f32_e32 v4, 0x4f800000, v7
	v_rcp_f32_e32 v4, v4
	v_mul_f32_e32 v4, 0x5f7ffffc, v4
	v_mul_f32_e32 v7, 0x2f800000, v4
	v_trunc_f32_e32 v7, v7
	v_fmac_f32_e32 v4, 0xcf800000, v7
	v_cvt_u32_f32_e32 v7, v7
	v_cvt_u32_f32_e32 v4, v4
	v_mul_lo_u32 v8, s0, v7
	v_mul_hi_u32 v9, s0, v4
	v_mul_lo_u32 v10, s26, v4
	v_add_nc_u32_e32 v8, v9, v8
	v_mul_lo_u32 v9, s0, v4
	v_add_nc_u32_e32 v8, v8, v10
	v_mul_hi_u32 v10, v4, v9
	v_mul_lo_u32 v11, v4, v8
	v_mul_hi_u32 v12, v4, v8
	v_mul_hi_u32 v13, v7, v9
	v_mul_lo_u32 v9, v7, v9
	v_mul_hi_u32 v14, v7, v8
	v_mul_lo_u32 v8, v7, v8
	v_add_co_u32 v10, vcc_lo, v10, v11
	v_add_co_ci_u32_e32 v11, vcc_lo, 0, v12, vcc_lo
	v_add_co_u32 v9, vcc_lo, v10, v9
	v_add_co_ci_u32_e32 v9, vcc_lo, v11, v13, vcc_lo
	v_add_co_ci_u32_e32 v10, vcc_lo, 0, v14, vcc_lo
	v_add_co_u32 v8, vcc_lo, v9, v8
	v_add_co_ci_u32_e32 v9, vcc_lo, 0, v10, vcc_lo
	v_add_co_u32 v4, vcc_lo, v4, v8
	v_add_co_ci_u32_e32 v7, vcc_lo, v7, v9, vcc_lo
	v_mul_hi_u32 v8, s0, v4
	v_mul_lo_u32 v10, s26, v4
	v_mul_lo_u32 v9, s0, v7
	v_add_nc_u32_e32 v8, v8, v9
	v_mul_lo_u32 v9, s0, v4
	v_add_nc_u32_e32 v8, v8, v10
	v_mul_hi_u32 v10, v4, v9
	v_mul_lo_u32 v11, v4, v8
	v_mul_hi_u32 v12, v4, v8
	v_mul_hi_u32 v13, v7, v9
	v_mul_lo_u32 v9, v7, v9
	v_mul_hi_u32 v14, v7, v8
	v_mul_lo_u32 v8, v7, v8
	v_add_co_u32 v10, vcc_lo, v10, v11
	v_add_co_ci_u32_e32 v11, vcc_lo, 0, v12, vcc_lo
	v_add_co_u32 v9, vcc_lo, v10, v9
	v_add_co_ci_u32_e32 v9, vcc_lo, v11, v13, vcc_lo
	v_add_co_ci_u32_e32 v10, vcc_lo, 0, v14, vcc_lo
	v_add_co_u32 v8, vcc_lo, v9, v8
	v_add_co_ci_u32_e32 v9, vcc_lo, 0, v10, vcc_lo
	v_add_co_u32 v4, vcc_lo, v4, v8
	v_add_co_ci_u32_e32 v11, vcc_lo, v7, v9, vcc_lo
	v_mul_hi_u32 v13, v5, v4
	v_mad_u64_u32 v[9:10], null, v6, v4, 0
	v_mad_u64_u32 v[7:8], null, v5, v11, 0
	;; [unrolled: 1-line block ×3, first 2 shown]
	v_add_co_u32 v4, vcc_lo, v13, v7
	v_add_co_ci_u32_e32 v7, vcc_lo, 0, v8, vcc_lo
	v_add_co_u32 v4, vcc_lo, v4, v9
	v_add_co_ci_u32_e32 v4, vcc_lo, v7, v10, vcc_lo
	v_add_co_ci_u32_e32 v7, vcc_lo, 0, v12, vcc_lo
	v_add_co_u32 v4, vcc_lo, v4, v11
	v_add_co_ci_u32_e32 v9, vcc_lo, 0, v7, vcc_lo
	v_mul_lo_u32 v10, s25, v4
	v_mad_u64_u32 v[7:8], null, s24, v4, 0
	v_mul_lo_u32 v11, s24, v9
	v_sub_co_u32 v7, vcc_lo, v5, v7
	v_add3_u32 v8, v8, v11, v10
	v_sub_nc_u32_e32 v10, v6, v8
	v_subrev_co_ci_u32_e64 v10, s0, s25, v10, vcc_lo
	v_add_co_u32 v11, s0, v4, 2
	v_add_co_ci_u32_e64 v12, s0, 0, v9, s0
	v_sub_co_u32 v13, s0, v7, s24
	v_sub_co_ci_u32_e32 v8, vcc_lo, v6, v8, vcc_lo
	v_subrev_co_ci_u32_e64 v10, s0, 0, v10, s0
	v_cmp_le_u32_e32 vcc_lo, s24, v13
	v_cmp_eq_u32_e64 s0, s25, v8
	v_cndmask_b32_e64 v13, 0, -1, vcc_lo
	v_cmp_le_u32_e32 vcc_lo, s25, v10
	v_cndmask_b32_e64 v14, 0, -1, vcc_lo
	v_cmp_le_u32_e32 vcc_lo, s24, v7
	;; [unrolled: 2-line block ×3, first 2 shown]
	v_cndmask_b32_e64 v15, 0, -1, vcc_lo
	v_cmp_eq_u32_e32 vcc_lo, s25, v10
	v_cndmask_b32_e64 v7, v15, v7, s0
	v_cndmask_b32_e32 v10, v14, v13, vcc_lo
	v_add_co_u32 v13, vcc_lo, v4, 1
	v_add_co_ci_u32_e32 v14, vcc_lo, 0, v9, vcc_lo
	v_cmp_ne_u32_e32 vcc_lo, 0, v10
	v_cndmask_b32_e32 v8, v14, v12, vcc_lo
	v_cndmask_b32_e32 v10, v13, v11, vcc_lo
	v_cmp_ne_u32_e32 vcc_lo, 0, v7
	v_cndmask_b32_e32 v89, v9, v8, vcc_lo
	v_cndmask_b32_e32 v88, v4, v10, vcc_lo
.LBB0_4:                                ;   in Loop: Header=BB0_2 Depth=1
	s_andn2_saveexec_b32 s0, s1
	s_cbranch_execz .LBB0_6
; %bb.5:                                ;   in Loop: Header=BB0_2 Depth=1
	v_cvt_f32_u32_e32 v4, s24
	s_sub_i32 s1, 0, s24
	v_mov_b32_e32 v89, v3
	v_rcp_iflag_f32_e32 v4, v4
	v_mul_f32_e32 v4, 0x4f7ffffe, v4
	v_cvt_u32_f32_e32 v4, v4
	v_mul_lo_u32 v7, s1, v4
	v_mul_hi_u32 v7, v4, v7
	v_add_nc_u32_e32 v4, v4, v7
	v_mul_hi_u32 v4, v5, v4
	v_mul_lo_u32 v7, v4, s24
	v_add_nc_u32_e32 v8, 1, v4
	v_sub_nc_u32_e32 v7, v5, v7
	v_subrev_nc_u32_e32 v9, s24, v7
	v_cmp_le_u32_e32 vcc_lo, s24, v7
	v_cndmask_b32_e32 v7, v7, v9, vcc_lo
	v_cndmask_b32_e32 v4, v4, v8, vcc_lo
	v_cmp_le_u32_e32 vcc_lo, s24, v7
	v_add_nc_u32_e32 v8, 1, v4
	v_cndmask_b32_e32 v88, v4, v8, vcc_lo
.LBB0_6:                                ;   in Loop: Header=BB0_2 Depth=1
	s_or_b32 exec_lo, exec_lo, s0
	v_mul_lo_u32 v4, v89, s24
	v_mul_lo_u32 v9, v88, s25
	s_load_dwordx2 s[0:1], s[6:7], 0x0
	v_mad_u64_u32 v[7:8], null, v88, s24, 0
	s_load_dwordx2 s[24:25], s[2:3], 0x0
	s_add_u32 s22, s22, 1
	s_addc_u32 s23, s23, 0
	s_add_u32 s2, s2, 8
	s_addc_u32 s3, s3, 0
	s_add_u32 s6, s6, 8
	v_add3_u32 v4, v8, v9, v4
	v_sub_co_u32 v5, vcc_lo, v5, v7
	s_addc_u32 s7, s7, 0
	s_add_u32 s20, s20, 8
	v_sub_co_ci_u32_e32 v4, vcc_lo, v6, v4, vcc_lo
	s_addc_u32 s21, s21, 0
	s_waitcnt lgkmcnt(0)
	v_mul_lo_u32 v6, s0, v4
	v_mul_lo_u32 v7, s1, v5
	v_mad_u64_u32 v[1:2], null, s0, v5, v[1:2]
	v_mul_lo_u32 v4, s24, v4
	v_mul_lo_u32 v8, s25, v5
	v_mad_u64_u32 v[84:85], null, s24, v5, v[84:85]
	v_cmp_ge_u64_e64 s0, s[22:23], s[14:15]
	v_add3_u32 v2, v7, v2, v6
	v_add3_u32 v85, v8, v85, v4
	s_and_b32 vcc_lo, exec_lo, s0
	s_cbranch_vccnz .LBB0_9
; %bb.7:                                ;   in Loop: Header=BB0_2 Depth=1
	v_mov_b32_e32 v5, v88
	v_mov_b32_e32 v6, v89
	s_branch .LBB0_2
.LBB0_8:
	v_mov_b32_e32 v85, v2
	v_mov_b32_e32 v89, v6
	;; [unrolled: 1-line block ×4, first 2 shown]
.LBB0_9:
	s_load_dwordx2 s[0:1], s[4:5], 0x28
	v_mul_hi_u32 v3, 0x2492493, v0
	s_lshl_b64 s[4:5], s[14:15], 3
                                        ; implicit-def: $vgpr86
                                        ; implicit-def: $vgpr91
                                        ; implicit-def: $vgpr97
                                        ; implicit-def: $vgpr96
                                        ; implicit-def: $vgpr95
                                        ; implicit-def: $vgpr94
                                        ; implicit-def: $vgpr93
                                        ; implicit-def: $vgpr90
	s_add_u32 s2, s18, s4
	s_addc_u32 s3, s19, s5
	s_waitcnt lgkmcnt(0)
	v_cmp_gt_u64_e32 vcc_lo, s[0:1], v[88:89]
	v_cmp_le_u64_e64 s0, s[0:1], v[88:89]
	s_and_saveexec_b32 s1, s0
	s_xor_b32 s0, exec_lo, s1
; %bb.10:
	v_mul_u32_u24_e32 v1, 0x70, v3
                                        ; implicit-def: $vgpr3
	v_sub_nc_u32_e32 v86, v0, v1
                                        ; implicit-def: $vgpr0
                                        ; implicit-def: $vgpr1_vgpr2
	v_add_nc_u32_e32 v91, 0x70, v86
	v_add_nc_u32_e32 v97, 0xe0, v86
	;; [unrolled: 1-line block ×7, first 2 shown]
; %bb.11:
	s_andn2_saveexec_b32 s1, s0
	s_cbranch_execz .LBB0_13
; %bb.12:
	s_add_u32 s4, s16, s4
	s_addc_u32 s5, s17, s5
	v_lshlrev_b64 v[1:2], 4, v[1:2]
	s_load_dwordx2 s[4:5], s[4:5], 0x0
	s_waitcnt lgkmcnt(0)
	v_mul_lo_u32 v6, s5, v88
	v_mul_lo_u32 v7, s4, v89
	v_mad_u64_u32 v[4:5], null, s4, v88, 0
	v_add3_u32 v5, v5, v7, v6
	v_mul_u32_u24_e32 v6, 0x70, v3
	v_lshlrev_b64 v[3:4], 4, v[4:5]
	v_sub_nc_u32_e32 v86, v0, v6
	v_lshlrev_b32_e32 v60, 4, v86
	v_add_co_u32 v0, s0, s8, v3
	v_add_co_ci_u32_e64 v3, s0, s9, v4, s0
	v_add_nc_u32_e32 v91, 0x70, v86
	v_add_co_u32 v0, s0, v0, v1
	v_add_co_ci_u32_e64 v1, s0, v3, v2, s0
	v_or_b32_e32 v2, 0x3800, v60
	v_add_co_u32 v12, s0, v0, v60
	v_add_co_ci_u32_e64 v13, s0, 0, v1, s0
	v_add_co_u32 v8, s0, v0, v2
	v_add_co_ci_u32_e64 v9, s0, 0, v1, s0
	;; [unrolled: 2-line block ×14, first 2 shown]
	s_clause 0xe
	global_load_dwordx4 v[0:3], v[12:13], off
	global_load_dwordx4 v[4:7], v[12:13], off offset:1792
	global_load_dwordx4 v[8:11], v[8:9], off
	global_load_dwordx4 v[12:15], v[14:15], off offset:1536
	global_load_dwordx4 v[16:19], v[16:17], off offset:1280
	;; [unrolled: 1-line block ×12, first 2 shown]
	v_add_nc_u32_e32 v97, 0xe0, v86
	v_add_nc_u32_e32 v96, 0x150, v86
	;; [unrolled: 1-line block ×7, first 2 shown]
	s_waitcnt vmcnt(14)
	ds_write_b128 v60, v[0:3]
	s_waitcnt vmcnt(13)
	ds_write_b128 v60, v[4:7] offset:1792
	s_waitcnt vmcnt(12)
	ds_write_b128 v60, v[8:11] offset:14336
	;; [unrolled: 2-line block ×14, first 2 shown]
.LBB0_13:
	s_or_b32 exec_lo, exec_lo, s1
	v_lshlrev_b32_e32 v87, 4, v86
	s_load_dwordx2 s[2:3], s[2:3], 0x0
	s_waitcnt lgkmcnt(0)
	s_barrier
	buffer_gl0_inv
	v_add_nc_u32_e32 v99, 0, v87
	v_lshl_add_u32 v72, v91, 5, 0
	v_lshl_add_u32 v73, v97, 5, 0
	;; [unrolled: 1-line block ×4, first 2 shown]
	ds_read_b128 v[0:3], v99 offset:13440
	ds_read_b128 v[4:7], v99
	ds_read_b128 v[8:11], v99 offset:1792
	ds_read_b128 v[12:15], v99 offset:15232
	;; [unrolled: 1-line block ×14, first 2 shown]
	v_lshl_add_u32 v76, v94, 5, 0
	v_lshl_add_u32 v77, v93, 5, 0
	v_cmp_gt_u32_e64 s0, 56, v86
	s_waitcnt lgkmcnt(0)
	s_barrier
	v_add_f64 v[64:65], v[4:5], -v[0:1]
	v_add_f64 v[66:67], v[6:7], -v[2:3]
	;; [unrolled: 1-line block ×16, first 2 shown]
	buffer_gl0_inv
	v_fma_f64 v[4:5], v[4:5], 2.0, -v[64:65]
	v_fma_f64 v[6:7], v[6:7], 2.0, -v[66:67]
	;; [unrolled: 1-line block ×16, first 2 shown]
	v_add_nc_u32_e32 v56, v99, v87
	ds_write_b128 v56, v[64:67] offset:16
	ds_write_b128 v72, v[12:15] offset:16
	;; [unrolled: 1-line block ×5, first 2 shown]
	ds_write_b128 v56, v[4:7]
	ds_write_b128 v72, v[8:11]
	ds_write_b128 v73, v[20:23]
	ds_write_b128 v74, v[24:27]
	ds_write_b128 v75, v[36:39]
	ds_write_b128 v76, v[40:43]
	ds_write_b128 v76, v[44:47] offset:16
	ds_write_b128 v77, v[52:55]
	ds_write_b128 v77, v[48:51] offset:16
	s_and_saveexec_b32 s1, s0
	s_cbranch_execz .LBB0_15
; %bb.14:
	v_lshl_add_u32 v4, v90, 5, 0
	ds_write_b128 v4, v[0:3]
	ds_write_b128 v4, v[32:35] offset:16
.LBB0_15:
	s_or_b32 exec_lo, exec_lo, s1
	v_lshlrev_b32_e32 v70, 4, v91
	v_lshlrev_b32_e32 v79, 4, v97
	;; [unrolled: 1-line block ×6, first 2 shown]
	v_sub_nc_u32_e32 v8, v72, v70
	v_sub_nc_u32_e32 v9, v73, v79
	;; [unrolled: 1-line block ×6, first 2 shown]
	s_waitcnt lgkmcnt(0)
	s_barrier
	buffer_gl0_inv
	ds_read_b128 v[4:7], v99
	ds_read_b128 v[36:39], v99 offset:13440
	ds_read_b128 v[12:15], v8
	ds_read_b128 v[8:11], v9
	ds_read_b128 v[44:47], v99 offset:15232
	ds_read_b128 v[40:43], v99 offset:17024
	ds_read_b128 v[28:31], v16
	ds_read_b128 v[24:27], v17
	;; [unrolled: 1-line block ×4, first 2 shown]
	ds_read_b128 v[60:63], v99 offset:18816
	ds_read_b128 v[56:59], v99 offset:20608
	;; [unrolled: 1-line block ×4, first 2 shown]
	v_lshlrev_b32_e32 v69, 1, v91
	v_lshlrev_b32_e32 v68, 1, v97
	;; [unrolled: 1-line block ×6, first 2 shown]
	v_lshl_add_u32 v100, v90, 4, 0
	s_and_saveexec_b32 s1, s0
	s_cbranch_execz .LBB0_17
; %bb.16:
	ds_read_b128 v[0:3], v100
	ds_read_b128 v[32:35], v99 offset:25984
.LBB0_17:
	s_or_b32 exec_lo, exec_lo, s1
	v_and_b32_e32 v78, 1, v86
	v_sub_nc_u32_e32 v83, 0, v70
	v_lshlrev_b32_e32 v70, 1, v86
	v_sub_nc_u32_e32 v82, 0, v79
	v_sub_nc_u32_e32 v79, 0, v98
	v_lshlrev_b32_e32 v81, 4, v78
	v_and_or_b32 v98, 0x3fc, v68, v78
	global_load_dwordx4 v[101:104], v81, s[12:13]
	v_sub_nc_u32_e32 v81, 0, v80
	v_sub_nc_u32_e32 v80, 0, v92
	v_and_or_b32 v92, 0x1fc, v69, v78
	v_lshl_add_u32 v98, v98, 4, 0
	s_waitcnt vmcnt(0) lgkmcnt(0)
	s_barrier
	buffer_gl0_inv
	v_lshl_add_u32 v92, v92, 4, 0
	v_mul_f64 v[105:106], v[38:39], v[103:104]
	v_mul_f64 v[107:108], v[36:37], v[103:104]
	;; [unrolled: 1-line block ×16, first 2 shown]
	v_fma_f64 v[36:37], v[36:37], v[101:102], v[105:106]
	v_fma_f64 v[38:39], v[38:39], v[101:102], -v[107:108]
	v_fma_f64 v[44:45], v[44:45], v[101:102], v[109:110]
	v_fma_f64 v[46:47], v[46:47], v[101:102], -v[111:112]
	;; [unrolled: 2-line block ×8, first 2 shown]
	v_and_or_b32 v35, 0xfc, v70, v78
	v_sub_nc_u32_e32 v32, 0, v71
	v_lshlrev_b32_e32 v71, 1, v90
	v_and_or_b32 v119, 0x3fc, v67, v78
	v_lshl_add_u32 v35, v35, 4, 0
	v_add_f64 v[40:41], v[4:5], -v[36:37]
	v_add_f64 v[42:43], v[6:7], -v[38:39]
	;; [unrolled: 1-line block ×16, first 2 shown]
	v_and_or_b32 v33, 0x7fc, v66, v78
	v_and_or_b32 v34, 0x5fc, v65, v78
	;; [unrolled: 1-line block ×3, first 2 shown]
	v_lshl_add_u32 v106, v119, 4, 0
	v_lshl_add_u32 v33, v33, 4, 0
	v_fma_f64 v[4:5], v[4:5], 2.0, -v[40:41]
	v_fma_f64 v[6:7], v[6:7], 2.0, -v[42:43]
	v_fma_f64 v[12:13], v[12:13], 2.0, -v[44:45]
	v_fma_f64 v[14:15], v[14:15], 2.0, -v[46:47]
	v_fma_f64 v[8:9], v[8:9], 2.0, -v[48:49]
	v_fma_f64 v[10:11], v[10:11], 2.0, -v[50:51]
	v_fma_f64 v[28:29], v[28:29], 2.0, -v[52:53]
	v_fma_f64 v[30:31], v[30:31], 2.0, -v[54:55]
	v_fma_f64 v[24:25], v[24:25], 2.0, -v[56:57]
	v_fma_f64 v[26:27], v[26:27], 2.0, -v[58:59]
	v_fma_f64 v[20:21], v[20:21], 2.0, -v[60:61]
	v_fma_f64 v[22:23], v[22:23], 2.0, -v[62:63]
	v_fma_f64 v[16:17], v[16:17], 2.0, -v[101:102]
	v_fma_f64 v[18:19], v[18:19], 2.0, -v[103:104]
	v_fma_f64 v[0:1], v[0:1], 2.0, -v[36:37]
	v_fma_f64 v[2:3], v[2:3], 2.0, -v[38:39]
	v_lshl_add_u32 v34, v34, 4, 0
	v_lshl_add_u32 v105, v105, 4, 0
	ds_write_b128 v35, v[40:43] offset:32
	ds_write_b128 v35, v[4:7]
	ds_write_b128 v92, v[12:15]
	ds_write_b128 v92, v[44:47] offset:32
	ds_write_b128 v98, v[8:11]
	ds_write_b128 v98, v[48:51] offset:32
	;; [unrolled: 2-line block ×6, first 2 shown]
	s_and_saveexec_b32 s1, s0
	s_cbranch_execz .LBB0_19
; %bb.18:
	v_and_or_b32 v4, 0x6fc, v71, v78
	v_lshl_add_u32 v4, v4, 4, 0
	ds_write_b128 v4, v[0:3]
	ds_write_b128 v4, v[36:39] offset:32
.LBB0_19:
	s_or_b32 exec_lo, exec_lo, s1
	v_add_nc_u32_e32 v104, v74, v81
	v_add_nc_u32_e32 v103, v75, v80
	;; [unrolled: 1-line block ×5, first 2 shown]
	s_waitcnt lgkmcnt(0)
	s_barrier
	buffer_gl0_inv
	ds_read_b128 v[12:15], v99
	ds_read_b128 v[8:11], v99 offset:13440
	ds_read_b128 v[16:19], v106
	ds_read_b128 v[4:7], v105
	ds_read_b128 v[44:47], v99 offset:15232
	ds_read_b128 v[40:43], v99 offset:17024
	v_add_nc_u32_e32 v101, v77, v32
	ds_read_b128 v[28:31], v104
	ds_read_b128 v[20:23], v103
	ds_read_b128 v[56:59], v99 offset:18816
	ds_read_b128 v[48:51], v99 offset:20608
	ds_read_b128 v[32:35], v102
	ds_read_b128 v[24:27], v101
	ds_read_b128 v[60:63], v99 offset:22400
	ds_read_b128 v[52:55], v99 offset:24192
	s_and_saveexec_b32 s1, s0
	s_cbranch_execz .LBB0_21
; %bb.20:
	ds_read_b128 v[0:3], v100
	ds_read_b128 v[36:39], v99 offset:25984
.LBB0_21:
	s_or_b32 exec_lo, exec_lo, s1
	v_and_b32_e32 v72, 3, v86
	v_lshlrev_b32_e32 v73, 4, v72
	v_and_or_b32 v83, 0xf8, v70, v72
	v_and_or_b32 v92, 0x1f8, v69, v72
	;; [unrolled: 1-line block ×3, first 2 shown]
	global_load_dwordx4 v[73:76], v73, s[12:13] offset:32
	s_waitcnt vmcnt(0) lgkmcnt(0)
	s_barrier
	buffer_gl0_inv
	v_mul_f64 v[77:78], v[10:11], v[75:76]
	v_mul_f64 v[79:80], v[8:9], v[75:76]
	;; [unrolled: 1-line block ×16, first 2 shown]
	v_fma_f64 v[8:9], v[8:9], v[73:74], v[77:78]
	v_fma_f64 v[10:11], v[10:11], v[73:74], -v[79:80]
	v_fma_f64 v[44:45], v[44:45], v[73:74], v[81:82]
	v_fma_f64 v[46:47], v[46:47], v[73:74], -v[107:108]
	;; [unrolled: 2-line block ×8, first 2 shown]
	v_and_or_b32 v115, 0x3f8, v67, v72
	v_add_f64 v[36:37], v[12:13], -v[8:9]
	v_add_f64 v[38:39], v[14:15], -v[10:11]
	;; [unrolled: 1-line block ×16, first 2 shown]
	v_and_or_b32 v77, 0x7f8, v66, v72
	v_and_or_b32 v78, 0x5f8, v65, v72
	;; [unrolled: 1-line block ×3, first 2 shown]
	v_lshl_add_u32 v77, v77, 4, 0
	v_fma_f64 v[12:13], v[12:13], 2.0, -v[36:37]
	v_fma_f64 v[14:15], v[14:15], 2.0, -v[38:39]
	;; [unrolled: 1-line block ×16, first 2 shown]
	v_lshl_add_u32 v0, v83, 4, 0
	v_lshl_add_u32 v1, v92, 4, 0
	;; [unrolled: 1-line block ×6, first 2 shown]
	ds_write_b128 v0, v[36:39] offset:64
	ds_write_b128 v0, v[12:15]
	ds_write_b128 v1, v[16:19]
	ds_write_b128 v1, v[40:43] offset:64
	ds_write_b128 v2, v[73:76]
	ds_write_b128 v2, v[44:47] offset:64
	;; [unrolled: 2-line block ×6, first 2 shown]
	s_and_saveexec_b32 s1, s0
	s_cbranch_execz .LBB0_23
; %bb.22:
	v_and_or_b32 v0, 0x6f8, v71, v72
	v_lshl_add_u32 v0, v0, 4, 0
	ds_write_b128 v0, v[4:7]
	ds_write_b128 v0, v[8:11] offset:64
.LBB0_23:
	s_or_b32 exec_lo, exec_lo, s1
	s_waitcnt lgkmcnt(0)
	s_barrier
	buffer_gl0_inv
	ds_read_b128 v[0:3], v99
	ds_read_b128 v[36:39], v99 offset:13440
	ds_read_b128 v[12:15], v106
	ds_read_b128 v[16:19], v105
	ds_read_b128 v[44:47], v99 offset:15232
	ds_read_b128 v[40:43], v99 offset:17024
	ds_read_b128 v[20:23], v104
	ds_read_b128 v[24:27], v103
	ds_read_b128 v[52:55], v99 offset:18816
	;; [unrolled: 4-line block ×3, first 2 shown]
	ds_read_b128 v[56:59], v99 offset:24192
	s_and_saveexec_b32 s1, s0
	s_cbranch_execz .LBB0_25
; %bb.24:
	ds_read_b128 v[4:7], v100
	ds_read_b128 v[8:11], v99 offset:25984
.LBB0_25:
	s_or_b32 exec_lo, exec_lo, s1
	v_and_b32_e32 v72, 7, v86
	v_lshlrev_b32_e32 v73, 4, v72
	v_and_or_b32 v83, 0xf0, v70, v72
	v_and_or_b32 v92, 0x1f0, v69, v72
	;; [unrolled: 1-line block ×4, first 2 shown]
	global_load_dwordx4 v[73:76], v73, s[12:13] offset:96
	v_and_or_b32 v65, 0x5f0, v65, v72
	v_and_or_b32 v64, 0x7f0, v64, v72
	s_waitcnt vmcnt(0) lgkmcnt(0)
	s_barrier
	buffer_gl0_inv
	v_lshl_add_u32 v66, v66, 4, 0
	v_lshl_add_u32 v65, v65, 4, 0
	;; [unrolled: 1-line block ×3, first 2 shown]
	v_mul_f64 v[77:78], v[38:39], v[75:76]
	v_mul_f64 v[79:80], v[36:37], v[75:76]
	;; [unrolled: 1-line block ×14, first 2 shown]
	v_fma_f64 v[36:37], v[36:37], v[73:74], v[77:78]
	v_fma_f64 v[38:39], v[38:39], v[73:74], -v[79:80]
	v_fma_f64 v[52:53], v[52:53], v[73:74], v[113:114]
	v_mul_f64 v[113:114], v[10:11], v[75:76]
	v_mul_f64 v[75:76], v[8:9], v[75:76]
	v_fma_f64 v[44:45], v[44:45], v[73:74], v[81:82]
	v_fma_f64 v[46:47], v[46:47], v[73:74], -v[107:108]
	v_fma_f64 v[77:78], v[40:41], v[73:74], v[109:110]
	v_fma_f64 v[79:80], v[42:43], v[73:74], -v[111:112]
	v_fma_f64 v[54:55], v[54:55], v[73:74], -v[115:116]
	v_fma_f64 v[81:82], v[48:49], v[73:74], v[117:118]
	v_fma_f64 v[107:108], v[50:51], v[73:74], -v[119:120]
	v_fma_f64 v[60:61], v[60:61], v[73:74], v[121:122]
	;; [unrolled: 2-line block ×3, first 2 shown]
	v_fma_f64 v[111:112], v[58:59], v[73:74], -v[127:128]
	v_and_or_b32 v115, 0x3f0, v67, v72
	v_add_f64 v[36:37], v[0:1], -v[36:37]
	v_add_f64 v[38:39], v[2:3], -v[38:39]
	;; [unrolled: 1-line block ×3, first 2 shown]
	v_fma_f64 v[67:68], v[8:9], v[73:74], v[113:114]
	v_fma_f64 v[69:70], v[10:11], v[73:74], -v[75:76]
	v_add_f64 v[40:41], v[12:13], -v[44:45]
	v_add_f64 v[42:43], v[14:15], -v[46:47]
	;; [unrolled: 1-line block ×11, first 2 shown]
	v_fma_f64 v[8:9], v[0:1], 2.0, -v[36:37]
	v_fma_f64 v[10:11], v[2:3], 2.0, -v[38:39]
	v_fma_f64 v[20:21], v[20:21], 2.0, -v[48:49]
	v_add_f64 v[0:1], v[4:5], -v[67:68]
	v_add_f64 v[2:3], v[6:7], -v[69:70]
	v_fma_f64 v[12:13], v[12:13], 2.0, -v[40:41]
	v_fma_f64 v[14:15], v[14:15], 2.0, -v[42:43]
	;; [unrolled: 1-line block ×11, first 2 shown]
	v_lshl_add_u32 v67, v83, 4, 0
	v_lshl_add_u32 v68, v92, 4, 0
	;; [unrolled: 1-line block ×4, first 2 shown]
	ds_write_b128 v67, v[36:39] offset:128
	ds_write_b128 v67, v[8:11]
	ds_write_b128 v68, v[12:15]
	ds_write_b128 v68, v[40:43] offset:128
	ds_write_b128 v69, v[16:19]
	ds_write_b128 v69, v[44:47] offset:128
	;; [unrolled: 2-line block ×6, first 2 shown]
	s_and_saveexec_b32 s1, s0
	s_cbranch_execz .LBB0_27
; %bb.26:
	v_fma_f64 v[6:7], v[6:7], 2.0, -v[2:3]
	v_fma_f64 v[4:5], v[4:5], 2.0, -v[0:1]
	v_and_or_b32 v8, 0x6f0, v71, v72
	v_lshl_add_u32 v8, v8, 4, 0
	ds_write_b128 v8, v[4:7]
	ds_write_b128 v8, v[0:3] offset:128
.LBB0_27:
	s_or_b32 exec_lo, exec_lo, s1
	v_and_b32_e32 v92, 15, v86
	s_waitcnt lgkmcnt(0)
	s_barrier
	buffer_gl0_inv
	v_lshrrev_b32_e32 v72, 4, v86
	v_lshlrev_b32_e32 v8, 5, v92
	v_lshrrev_b32_e32 v73, 4, v91
	v_lshrrev_b32_e32 v74, 4, v97
	;; [unrolled: 1-line block ×4, first 2 shown]
	s_clause 0x1
	global_load_dwordx4 v[4:7], v8, s[12:13] offset:224
	global_load_dwordx4 v[8:11], v8, s[12:13] offset:240
	ds_read_b128 v[12:15], v102
	ds_read_b128 v[16:19], v99
	ds_read_b128 v[20:23], v99 offset:10752
	ds_read_b128 v[24:27], v106
	ds_read_b128 v[28:31], v105
	ds_read_b128 v[32:35], v99 offset:19712
	ds_read_b128 v[36:39], v99 offset:21504
	;; [unrolled: 1-line block ×4, first 2 shown]
	ds_read_b128 v[48:51], v104
	ds_read_b128 v[52:55], v103
	ds_read_b128 v[56:59], v99 offset:17920
	ds_read_b128 v[60:63], v99 offset:16128
	;; [unrolled: 1-line block ×4, first 2 shown]
	v_mul_u32_u24_e32 v98, 48, v72
	v_mul_lo_u32 v131, v73, 48
	v_mul_lo_u32 v132, v74, 48
	v_mul_lo_u32 v133, v75, 48
	v_mul_lo_u32 v134, v76, 48
	s_mov_b32 s4, 0xe8584caa
	s_mov_b32 s5, 0xbfebb67a
	;; [unrolled: 1-line block ×4, first 2 shown]
	v_or_b32_e32 v135, v131, v92
	v_or_b32_e32 v136, v132, v92
	;; [unrolled: 1-line block ×3, first 2 shown]
	s_waitcnt vmcnt(0) lgkmcnt(0)
	s_barrier
	buffer_gl0_inv
	v_cmp_gt_u32_e64 s1, 16, v86
	v_mul_f64 v[72:73], v[14:15], v[6:7]
	v_mul_f64 v[74:75], v[12:13], v[6:7]
	;; [unrolled: 1-line block ×20, first 2 shown]
	v_fma_f64 v[12:13], v[12:13], v[4:5], v[72:73]
	v_fma_f64 v[14:15], v[14:15], v[4:5], -v[74:75]
	v_fma_f64 v[56:57], v[56:57], v[8:9], v[76:77]
	v_fma_f64 v[58:59], v[58:59], v[8:9], -v[78:79]
	;; [unrolled: 2-line block ×10, first 2 shown]
	v_add_f64 v[8:9], v[16:17], v[12:13]
	v_add_f64 v[70:71], v[18:19], v[14:15]
	v_add_f64 v[10:11], v[12:13], v[56:57]
	v_add_f64 v[68:69], v[14:15], -v[58:59]
	v_add_f64 v[14:15], v[14:15], v[58:59]
	v_add_f64 v[78:79], v[26:27], v[22:23]
	v_add_f64 v[74:75], v[20:21], v[32:33]
	v_add_f64 v[76:77], v[22:23], -v[34:35]
	;; [unrolled: 4-line block ×3, first 2 shown]
	v_add_f64 v[42:43], v[42:43], v[38:39]
	v_add_f64 v[72:73], v[12:13], -v[56:57]
	v_add_f64 v[12:13], v[24:25], v[20:21]
	v_add_f64 v[80:81], v[20:21], -v[32:33]
	;; [unrolled: 2-line block ×3, first 2 shown]
	v_add_f64 v[40:41], v[44:45], v[64:65]
	v_add_f64 v[115:116], v[46:47], v[66:67]
	v_add_f64 v[113:114], v[48:49], v[44:45]
	v_add_f64 v[119:120], v[60:61], v[6:7]
	v_add_f64 v[121:122], v[4:5], v[62:63]
	v_add_f64 v[123:124], v[44:45], -v[64:65]
	v_fma_f64 v[127:128], v[10:11], -0.5, v[16:17]
	v_add_f64 v[44:45], v[52:53], v[60:61]
	v_fma_f64 v[129:130], v[14:15], -0.5, v[18:19]
	v_add_f64 v[131:132], v[60:61], -v[6:7]
	v_fma_f64 v[60:61], v[74:75], -0.5, v[24:25]
	v_add_f64 v[8:9], v[8:9], v[56:57]
	v_fma_f64 v[56:57], v[22:23], -0.5, v[26:27]
	v_add_f64 v[117:118], v[46:47], -v[66:67]
	v_add_f64 v[46:47], v[50:51], v[46:47]
	v_add_f64 v[10:11], v[70:71], v[58:59]
	v_fma_f64 v[58:59], v[82:83], -0.5, v[28:29]
	v_fma_f64 v[70:71], v[42:43], -0.5, v[30:31]
	v_add_f64 v[14:15], v[78:79], v[34:35]
	v_add_f64 v[125:126], v[54:55], v[4:5]
	v_add_f64 v[4:5], v[4:5], -v[62:63]
	v_add_f64 v[16:17], v[20:21], v[36:37]
	v_fma_f64 v[74:75], v[40:41], -0.5, v[48:49]
	v_fma_f64 v[78:79], v[115:116], -0.5, v[50:51]
	v_add_f64 v[20:21], v[113:114], v[64:65]
	v_fma_f64 v[82:83], v[119:120], -0.5, v[52:53]
	v_fma_f64 v[64:65], v[121:122], -0.5, v[54:55]
	v_add_f64 v[12:13], v[12:13], v[32:33]
	v_fma_f64 v[28:29], v[68:69], s[4:5], v[127:128]
	v_fma_f64 v[32:33], v[68:69], s[6:7], v[127:128]
	;; [unrolled: 1-line block ×4, first 2 shown]
	v_add_f64 v[18:19], v[109:110], v[38:39]
	v_fma_f64 v[36:37], v[76:77], s[4:5], v[60:61]
	v_fma_f64 v[38:39], v[80:81], s[6:7], v[56:57]
	;; [unrolled: 1-line block ×4, first 2 shown]
	v_add_f64 v[22:23], v[46:47], v[66:67]
	v_add_f64 v[24:25], v[44:45], v[6:7]
	v_fma_f64 v[44:45], v[107:108], s[4:5], v[58:59]
	v_fma_f64 v[46:47], v[111:112], s[6:7], v[70:71]
	;; [unrolled: 1-line block ×4, first 2 shown]
	v_add_f64 v[26:27], v[125:126], v[62:63]
	v_fma_f64 v[52:53], v[117:118], s[4:5], v[74:75]
	v_fma_f64 v[54:55], v[123:124], s[6:7], v[78:79]
	;; [unrolled: 1-line block ×8, first 2 shown]
	v_or_b32_e32 v64, v133, v92
	v_or_b32_e32 v65, v134, v92
	v_lshl_add_u32 v66, v98, 4, 0
	v_lshl_add_u32 v67, v135, 4, 0
	;; [unrolled: 1-line block ×5, first 2 shown]
	ds_write_b128 v66, v[8:11]
	ds_write_b128 v66, v[28:31] offset:256
	ds_write_b128 v66, v[32:35] offset:512
	ds_write_b128 v67, v[12:15]
	ds_write_b128 v67, v[36:39] offset:256
	ds_write_b128 v67, v[40:43] offset:512
	;; [unrolled: 3-line block ×5, first 2 shown]
	s_waitcnt lgkmcnt(0)
	s_barrier
	buffer_gl0_inv
	ds_read_b128 v[28:31], v99
	ds_read_b128 v[60:63], v99 offset:3840
	ds_read_b128 v[56:59], v99 offset:7680
	;; [unrolled: 1-line block ×11, first 2 shown]
	ds_read_b128 v[32:35], v106
	ds_read_b128 v[72:75], v99 offset:24832
                                        ; implicit-def: $vgpr26_vgpr27
                                        ; implicit-def: $vgpr22_vgpr23
                                        ; implicit-def: $vgpr18_vgpr19
                                        ; implicit-def: $vgpr14_vgpr15
                                        ; implicit-def: $vgpr10_vgpr11
	s_and_saveexec_b32 s4, s1
	s_cbranch_execz .LBB0_29
; %bb.28:
	ds_read_b128 v[4:7], v105
	ds_read_b128 v[0:3], v99 offset:7424
	ds_read_b128 v[8:11], v99 offset:11264
	;; [unrolled: 1-line block ×6, first 2 shown]
.LBB0_29:
	s_or_b32 exec_lo, exec_lo, s4
	v_and_b32_e32 v92, 0xff, v86
	v_and_b32_e32 v98, 0xff, v91
	v_mov_b32_e32 v113, 6
	s_mov_b32 s14, 0x37e14327
	s_mov_b32 s6, 0x36b3c0b5
	v_mul_lo_u16 v92, 0xab, v92
	v_mul_lo_u16 v98, 0xab, v98
	s_mov_b32 s18, 0xe976ee23
	s_mov_b32 s4, 0x429ad128
	;; [unrolled: 1-line block ×3, first 2 shown]
	v_lshrrev_b16 v92, 13, v92
	v_lshrrev_b16 v108, 13, v98
	s_mov_b32 s7, 0x3fac98ee
	s_mov_b32 s19, 0x3fe11646
	;; [unrolled: 1-line block ×3, first 2 shown]
	v_mul_lo_u16 v107, v92, 48
	v_mul_lo_u16 v109, v108, 48
	s_mov_b32 s8, 0xaaaaaaaa
	s_mov_b32 s16, 0x5476071b
	;; [unrolled: 1-line block ×3, first 2 shown]
	v_sub_nc_u16 v107, v86, v107
	s_mov_b32 s9, 0xbff2aaaa
	s_mov_b32 s17, 0x3fe77f67
	;; [unrolled: 1-line block ×4, first 2 shown]
	v_mul_u32_u24_sdwa v98, v107, v113 dst_sel:DWORD dst_unused:UNUSED_PAD src0_sel:BYTE_0 src1_sel:DWORD
	s_mov_b32 s27, 0x3fd5d0dc
	s_mov_b32 s20, s16
	;; [unrolled: 1-line block ×4, first 2 shown]
	v_lshlrev_b32_e32 v129, 4, v98
	v_sub_nc_u16 v98, v91, v109
	s_mov_b32 s25, 0xbfdc38aa
	v_mov_b32_e32 v181, 0x1500
	v_mov_b32_e32 v182, 4
	global_load_dwordx4 v[109:112], v129, s[12:13] offset:736
	v_mul_u32_u24_sdwa v125, v98, v113 dst_sel:DWORD dst_unused:UNUSED_PAD src0_sel:BYTE_0 src1_sel:DWORD
	s_clause 0x2
	global_load_dwordx4 v[113:116], v129, s[12:13] offset:752
	global_load_dwordx4 v[117:120], v129, s[12:13] offset:816
	;; [unrolled: 1-line block ×3, first 2 shown]
	v_mul_u32_u24_sdwa v92, v92, v181 dst_sel:DWORD dst_unused:UNUSED_PAD src0_sel:WORD_0 src1_sel:DWORD
	v_lshlrev_b32_sdwa v107, v182, v107 dst_sel:DWORD dst_unused:UNUSED_PAD src0_sel:DWORD src1_sel:BYTE_0
	v_mul_u32_u24_sdwa v108, v108, v181 dst_sel:DWORD dst_unused:UNUSED_PAD src0_sel:WORD_0 src1_sel:DWORD
	v_lshlrev_b32_e32 v153, 4, v125
	v_lshlrev_b32_sdwa v98, v182, v98 dst_sel:DWORD dst_unused:UNUSED_PAD src0_sel:DWORD src1_sel:BYTE_0
	s_clause 0x7
	global_load_dwordx4 v[125:128], v129, s[12:13] offset:800
	global_load_dwordx4 v[129:132], v129, s[12:13] offset:784
	;; [unrolled: 1-line block ×8, first 2 shown]
	v_add3_u32 v92, 0, v92, v107
	s_waitcnt vmcnt(0) lgkmcnt(0)
	v_add3_u32 v98, 0, v108, v98
	s_barrier
	buffer_gl0_inv
	v_mul_f64 v[159:160], v[58:59], v[115:116]
	v_mul_f64 v[157:158], v[62:63], v[111:112]
	;; [unrolled: 1-line block ×24, first 2 shown]
	v_fma_f64 v[60:61], v[60:61], v[109:110], v[157:158]
	v_fma_f64 v[62:63], v[62:63], v[109:110], -v[111:112]
	v_fma_f64 v[56:57], v[56:57], v[113:114], v[159:160]
	v_fma_f64 v[58:59], v[58:59], v[113:114], -v[115:116]
	;; [unrolled: 2-line block ×12, first 2 shown]
	v_add_f64 v[109:110], v[60:61], v[80:81]
	v_add_f64 v[111:112], v[62:63], v[82:83]
	;; [unrolled: 1-line block ×4, first 2 shown]
	v_add_f64 v[60:61], v[60:61], -v[80:81]
	v_add_f64 v[62:63], v[62:63], -v[82:83]
	v_add_f64 v[80:81], v[64:65], v[68:69]
	v_add_f64 v[82:83], v[66:67], v[70:71]
	v_add_f64 v[64:65], v[68:69], -v[64:65]
	v_add_f64 v[66:67], v[70:71], -v[66:67]
	v_add_f64 v[68:69], v[48:49], v[72:73]
	v_add_f64 v[70:71], v[50:51], v[74:75]
	;; [unrolled: 4-line block ×3, first 2 shown]
	v_add_f64 v[56:57], v[56:57], -v[76:77]
	v_add_f64 v[58:59], v[58:59], -v[78:79]
	;; [unrolled: 1-line block ×4, first 2 shown]
	v_add_f64 v[52:53], v[36:37], v[40:41]
	v_add_f64 v[54:55], v[38:39], v[42:43]
	v_add_f64 v[36:37], v[40:41], -v[36:37]
	v_add_f64 v[38:39], v[42:43], -v[38:39]
	v_add_f64 v[40:41], v[113:114], v[109:110]
	v_add_f64 v[42:43], v[115:116], v[111:112]
	v_add_f64 v[76:77], v[113:114], -v[109:110]
	v_add_f64 v[78:79], v[115:116], -v[111:112]
	v_add_f64 v[109:110], v[109:110], -v[80:81]
	v_add_f64 v[111:112], v[111:112], -v[82:83]
	v_add_f64 v[113:114], v[80:81], -v[113:114]
	v_add_f64 v[115:116], v[82:83], -v[115:116]
	v_add_f64 v[125:126], v[72:73], v[68:69]
	v_add_f64 v[127:128], v[74:75], v[70:71]
	;; [unrolled: 1-line block ×4, first 2 shown]
	v_add_f64 v[121:122], v[64:65], -v[56:57]
	v_add_f64 v[123:124], v[66:67], -v[58:59]
	;; [unrolled: 1-line block ×6, first 2 shown]
	v_add_f64 v[40:41], v[80:81], v[40:41]
	v_add_f64 v[42:43], v[82:83], v[42:43]
	v_add_f64 v[68:69], v[68:69], -v[52:53]
	v_add_f64 v[70:71], v[70:71], -v[54:55]
	;; [unrolled: 1-line block ×4, first 2 shown]
	v_add_f64 v[133:134], v[36:37], v[44:45]
	v_add_f64 v[135:136], v[38:39], v[46:47]
	v_add_f64 v[137:138], v[36:37], -v[44:45]
	v_add_f64 v[139:140], v[38:39], -v[46:47]
	;; [unrolled: 1-line block ×4, first 2 shown]
	v_add_f64 v[52:53], v[52:53], v[125:126]
	v_add_f64 v[54:55], v[54:55], v[127:128]
	v_add_f64 v[64:65], v[60:61], -v[64:65]
	v_add_f64 v[66:67], v[62:63], -v[66:67]
	v_add_f64 v[60:61], v[117:118], v[60:61]
	v_add_f64 v[62:63], v[119:120], v[62:63]
	v_mul_f64 v[80:81], v[109:110], s[14:15]
	v_mul_f64 v[82:83], v[111:112], s[14:15]
	;; [unrolled: 1-line block ×8, first 2 shown]
	v_add_f64 v[28:29], v[28:29], v[40:41]
	v_add_f64 v[30:31], v[30:31], v[42:43]
	v_add_f64 v[36:37], v[48:49], -v[36:37]
	v_add_f64 v[38:39], v[50:51], -v[38:39]
	v_add_f64 v[48:49], v[133:134], v[48:49]
	v_add_f64 v[50:51], v[135:136], v[50:51]
	v_mul_f64 v[68:69], v[68:69], s[14:15]
	v_mul_f64 v[70:71], v[70:71], s[14:15]
	;; [unrolled: 1-line block ×4, first 2 shown]
	v_add_f64 v[32:33], v[32:33], v[52:53]
	v_add_f64 v[34:35], v[34:35], v[54:55]
	v_mul_f64 v[137:138], v[44:45], s[4:5]
	v_mul_f64 v[139:140], v[46:47], s[4:5]
	;; [unrolled: 1-line block ×4, first 2 shown]
	v_fma_f64 v[113:114], v[113:114], s[6:7], v[80:81]
	v_fma_f64 v[115:116], v[115:116], s[6:7], v[82:83]
	v_fma_f64 v[109:110], v[76:77], s[16:17], -v[109:110]
	v_fma_f64 v[111:112], v[78:79], s[16:17], -v[111:112]
	;; [unrolled: 1-line block ×4, first 2 shown]
	v_fma_f64 v[80:81], v[64:65], s[22:23], v[117:118]
	v_fma_f64 v[82:83], v[66:67], s[22:23], v[119:120]
	v_fma_f64 v[56:57], v[56:57], s[4:5], -v[117:118]
	v_fma_f64 v[58:59], v[58:59], s[4:5], -v[119:120]
	;; [unrolled: 1-line block ×4, first 2 shown]
	v_fma_f64 v[40:41], v[40:41], s[8:9], v[28:29]
	v_fma_f64 v[42:43], v[42:43], s[8:9], v[30:31]
	;; [unrolled: 1-line block ×8, first 2 shown]
	v_fma_f64 v[36:37], v[36:37], s[26:27], -v[137:138]
	v_fma_f64 v[38:39], v[38:39], s[26:27], -v[139:140]
	;; [unrolled: 1-line block ×8, first 2 shown]
	v_fma_f64 v[80:81], v[60:61], s[24:25], v[80:81]
	v_fma_f64 v[82:83], v[62:63], s[24:25], v[82:83]
	;; [unrolled: 1-line block ×6, first 2 shown]
	v_add_f64 v[64:65], v[113:114], v[40:41]
	v_add_f64 v[66:67], v[115:116], v[42:43]
	;; [unrolled: 1-line block ×6, first 2 shown]
	v_fma_f64 v[113:114], v[48:49], s[24:25], v[121:122]
	v_fma_f64 v[115:116], v[50:51], s[24:25], v[123:124]
	v_add_f64 v[129:130], v[72:73], v[52:53]
	v_add_f64 v[131:132], v[74:75], v[54:55]
	v_fma_f64 v[125:126], v[48:49], s[24:25], v[36:37]
	v_fma_f64 v[127:128], v[50:51], s[24:25], v[38:39]
	v_add_f64 v[133:134], v[68:69], v[52:53]
	v_add_f64 v[135:136], v[70:71], v[54:55]
	;; [unrolled: 4-line block ×3, first 2 shown]
	v_add_f64 v[36:37], v[82:83], v[64:65]
	v_add_f64 v[38:39], v[66:67], -v[80:81]
	v_add_f64 v[40:41], v[62:63], v[76:77]
	v_add_f64 v[42:43], v[78:79], -v[60:61]
	v_add_f64 v[44:45], v[109:110], -v[58:59]
	v_add_f64 v[46:47], v[56:57], v[111:112]
	v_add_f64 v[48:49], v[58:59], v[109:110]
	v_add_f64 v[50:51], v[111:112], -v[56:57]
	v_add_f64 v[52:53], v[76:77], -v[62:63]
	v_add_f64 v[54:55], v[60:61], v[78:79]
	v_add_f64 v[56:57], v[64:65], -v[82:83]
	v_add_f64 v[58:59], v[80:81], v[66:67]
	v_add_f64 v[60:61], v[115:116], v[129:130]
	v_add_f64 v[62:63], v[131:132], -v[113:114]
	v_add_f64 v[64:65], v[127:128], v[133:134]
	v_add_f64 v[66:67], v[135:136], -v[125:126]
	v_add_f64 v[68:69], v[72:73], -v[123:124]
	v_add_f64 v[70:71], v[121:122], v[74:75]
	v_add_f64 v[72:73], v[123:124], v[72:73]
	v_add_f64 v[74:75], v[74:75], -v[121:122]
	v_add_f64 v[76:77], v[133:134], -v[127:128]
	v_add_f64 v[78:79], v[125:126], v[135:136]
	v_add_f64 v[80:81], v[129:130], -v[115:116]
	v_add_f64 v[82:83], v[113:114], v[131:132]
	ds_write_b128 v92, v[28:31]
	ds_write_b128 v92, v[36:39] offset:768
	ds_write_b128 v92, v[40:43] offset:1536
	;; [unrolled: 1-line block ×6, first 2 shown]
	ds_write_b128 v98, v[32:35]
	ds_write_b128 v98, v[60:63] offset:768
	ds_write_b128 v98, v[64:67] offset:1536
	;; [unrolled: 1-line block ×6, first 2 shown]
	s_and_saveexec_b32 s28, s1
	s_cbranch_execz .LBB0_31
; %bb.30:
	v_mov_b32_e32 v28, 0xaaab
	v_mul_u32_u24_sdwa v28, v97, v28 dst_sel:DWORD dst_unused:UNUSED_PAD src0_sel:WORD_0 src1_sel:DWORD
	v_lshrrev_b32_e32 v28, 21, v28
	v_mul_lo_u16 v28, v28, 48
	v_sub_nc_u16 v28, v97, v28
	v_and_b32_e32 v64, 0xffff, v28
	v_mul_u32_u24_e32 v28, 6, v64
	v_lshlrev_b32_e32 v48, 4, v28
	s_clause 0x5
	global_load_dwordx4 v[28:31], v48, s[12:13] offset:752
	global_load_dwordx4 v[32:35], v48, s[12:13] offset:800
	;; [unrolled: 1-line block ×6, first 2 shown]
	s_waitcnt vmcnt(5)
	v_mul_f64 v[52:53], v[8:9], v[30:31]
	s_waitcnt vmcnt(4)
	v_mul_f64 v[54:55], v[20:21], v[34:35]
	;; [unrolled: 2-line block ×4, first 2 shown]
	v_mul_f64 v[30:31], v[10:11], v[30:31]
	v_mul_f64 v[34:35], v[22:23], v[34:35]
	;; [unrolled: 1-line block ×4, first 2 shown]
	s_waitcnt vmcnt(1)
	v_mul_f64 v[60:61], v[18:19], v[46:47]
	s_waitcnt vmcnt(0)
	v_mul_f64 v[62:63], v[14:15], v[50:51]
	v_mul_f64 v[50:51], v[12:13], v[50:51]
	;; [unrolled: 1-line block ×3, first 2 shown]
	v_fma_f64 v[10:11], v[10:11], v[28:29], -v[52:53]
	v_fma_f64 v[22:23], v[22:23], v[32:33], -v[54:55]
	;; [unrolled: 1-line block ×4, first 2 shown]
	v_fma_f64 v[8:9], v[8:9], v[28:29], v[30:31]
	v_fma_f64 v[20:21], v[20:21], v[32:33], v[34:35]
	;; [unrolled: 1-line block ×6, first 2 shown]
	v_fma_f64 v[14:15], v[14:15], v[48:49], -v[50:51]
	v_fma_f64 v[18:19], v[18:19], v[44:45], -v[46:47]
	v_add_f64 v[28:29], v[10:11], v[22:23]
	v_add_f64 v[10:11], v[10:11], -v[22:23]
	v_add_f64 v[30:31], v[2:3], v[26:27]
	v_add_f64 v[32:33], v[8:9], v[20:21]
	v_add_f64 v[8:9], v[8:9], -v[20:21]
	v_add_f64 v[34:35], v[0:1], v[24:25]
	v_add_f64 v[36:37], v[16:17], -v[12:13]
	v_add_f64 v[12:13], v[12:13], v[16:17]
	v_add_f64 v[20:21], v[14:15], v[18:19]
	v_add_f64 v[16:17], v[0:1], -v[24:25]
	v_add_f64 v[14:15], v[18:19], -v[14:15]
	;; [unrolled: 1-line block ×3, first 2 shown]
	v_add_f64 v[0:1], v[28:29], v[30:31]
	v_add_f64 v[2:3], v[32:33], v[34:35]
	v_add_f64 v[22:23], v[36:37], -v[8:9]
	v_add_f64 v[26:27], v[34:35], -v[12:13]
	;; [unrolled: 1-line block ×4, first 2 shown]
	v_add_f64 v[8:9], v[36:37], v[8:9]
	v_add_f64 v[42:43], v[10:11], -v[18:19]
	v_add_f64 v[36:37], v[16:17], -v[36:37]
	v_add_f64 v[40:41], v[20:21], v[0:1]
	v_add_f64 v[20:21], v[20:21], -v[28:29]
	v_add_f64 v[0:1], v[14:15], -v[10:11]
	v_add_f64 v[10:11], v[14:15], v[10:11]
	v_add_f64 v[44:45], v[12:13], v[2:3]
	v_add_f64 v[12:13], v[12:13], -v[32:33]
	v_mul_f64 v[22:23], v[22:23], s[18:19]
	v_mul_f64 v[26:27], v[26:27], s[14:15]
	;; [unrolled: 1-line block ×4, first 2 shown]
	v_add_f64 v[14:15], v[18:19], -v[14:15]
	v_mul_f64 v[48:49], v[42:43], s[4:5]
	v_add_f64 v[8:9], v[8:9], v[16:17]
	v_add_f64 v[2:3], v[6:7], v[40:41]
	v_add_f64 v[6:7], v[28:29], -v[30:31]
	v_mul_f64 v[28:29], v[20:21], s[6:7]
	v_mul_f64 v[30:31], v[0:1], s[18:19]
	v_add_f64 v[0:1], v[4:5], v[44:45]
	v_add_f64 v[4:5], v[32:33], -v[34:35]
	v_mul_f64 v[32:33], v[12:13], s[6:7]
	v_add_f64 v[10:11], v[10:11], v[18:19]
	v_fma_f64 v[16:17], v[36:37], s[22:23], v[22:23]
	v_fma_f64 v[18:19], v[20:21], s[6:7], v[24:25]
	v_fma_f64 v[12:13], v[12:13], s[6:7], v[26:27]
	v_fma_f64 v[20:21], v[36:37], s[26:27], -v[46:47]
	v_fma_f64 v[22:23], v[38:39], s[4:5], -v[22:23]
	v_fma_f64 v[34:35], v[40:41], s[8:9], v[2:3]
	v_fma_f64 v[24:25], v[6:7], s[20:21], -v[24:25]
	v_fma_f64 v[6:7], v[6:7], s[16:17], -v[28:29]
	v_fma_f64 v[28:29], v[14:15], s[22:23], v[30:31]
	v_fma_f64 v[36:37], v[44:45], s[8:9], v[0:1]
	v_fma_f64 v[14:15], v[14:15], s[26:27], -v[48:49]
	v_fma_f64 v[26:27], v[4:5], s[20:21], -v[26:27]
	;; [unrolled: 1-line block ×4, first 2 shown]
	v_fma_f64 v[16:17], v[8:9], s[24:25], v[16:17]
	v_fma_f64 v[20:21], v[8:9], s[24:25], v[20:21]
	;; [unrolled: 1-line block ×3, first 2 shown]
	v_add_f64 v[32:33], v[18:19], v[34:35]
	v_add_f64 v[22:23], v[24:25], v[34:35]
	;; [unrolled: 1-line block ×3, first 2 shown]
	v_fma_f64 v[28:29], v[10:11], s[24:25], v[28:29]
	v_add_f64 v[38:39], v[12:13], v[36:37]
	v_fma_f64 v[34:35], v[10:11], s[24:25], v[14:15]
	v_add_f64 v[40:41], v[26:27], v[36:37]
	v_fma_f64 v[30:31], v[10:11], s[24:25], v[30:31]
	v_add_f64 v[4:5], v[4:5], v[36:37]
	v_add_f64 v[26:27], v[32:33], -v[16:17]
	v_add_f64 v[10:11], v[20:21], v[22:23]
	v_add_f64 v[22:23], v[22:23], -v[20:21]
	v_add_f64 v[6:7], v[16:17], v[32:33]
	v_add_f64 v[24:25], v[28:29], v[38:39]
	v_add_f64 v[14:15], v[18:19], -v[8:9]
	v_add_f64 v[20:21], v[34:35], v[40:41]
	;; [unrolled: 3-line block ×3, first 2 shown]
	v_add_f64 v[8:9], v[40:41], -v[34:35]
	v_add_f64 v[4:5], v[38:39], -v[28:29]
	v_lshl_add_u32 v28, v64, 4, 0
	ds_write_b128 v28, v[0:3] offset:21504
	ds_write_b128 v28, v[24:27] offset:22272
	;; [unrolled: 1-line block ×7, first 2 shown]
.LBB0_31:
	s_or_b32 exec_lo, exec_lo, s28
	v_lshlrev_b32_e32 v0, 2, v86
	v_mov_b32_e32 v1, 0
	s_waitcnt lgkmcnt(0)
	s_barrier
	buffer_gl0_inv
	s_mov_b32 s14, 0x134454ff
	v_lshlrev_b64 v[2:3], 4, v[0:1]
	v_lshlrev_b32_e32 v0, 2, v91
	s_mov_b32 s15, 0xbfee6f0e
	s_mov_b32 s17, 0x3fee6f0e
	s_mov_b32 s16, s14
	s_mov_b32 s6, 0x4755a5e
	v_add_co_u32 v4, s1, s12, v2
	v_add_co_ci_u32_e64 v5, s1, s13, v3, s1
	v_lshlrev_b64 v[18:19], 4, v[0:1]
	v_add_co_u32 v2, s1, 0x1000, v4
	v_add_co_ci_u32_e64 v3, s1, 0, v5, s1
	v_add_co_u32 v14, s1, 0x14e0, v4
	v_add_co_ci_u32_e64 v15, s1, 0, v5, s1
	v_add_co_u32 v20, s1, s12, v18
	v_lshlrev_b32_e32 v0, 2, v97
	v_add_co_ci_u32_e64 v21, s1, s13, v19, s1
	v_add_co_u32 v18, s1, 0x1000, v20
	v_lshlrev_b64 v[22:23], 4, v[0:1]
	v_add_co_ci_u32_e64 v19, s1, 0, v21, s1
	v_add_co_u32 v30, s1, 0x14e0, v20
	v_add_co_ci_u32_e64 v31, s1, 0, v21, s1
	v_add_co_u32 v0, s1, s12, v22
	v_add_co_ci_u32_e64 v32, s1, s13, v23, s1
	s_clause 0x3
	global_load_dwordx4 v[2:5], v[2:3], off offset:1248
	global_load_dwordx4 v[6:9], v[14:15], off offset:48
	;; [unrolled: 1-line block ×4, first 2 shown]
	v_add_co_u32 v34, s1, 0x1000, v0
	v_add_co_ci_u32_e64 v35, s1, 0, v32, s1
	v_add_co_u32 v46, s1, 0x14e0, v0
	s_clause 0x2
	global_load_dwordx4 v[18:21], v[18:19], off offset:1248
	global_load_dwordx4 v[22:25], v[30:31], off offset:32
	;; [unrolled: 1-line block ×3, first 2 shown]
	v_add_co_ci_u32_e64 v47, s1, 0, v32, s1
	s_clause 0x4
	global_load_dwordx4 v[30:33], v[30:31], off offset:48
	global_load_dwordx4 v[34:37], v[34:35], off offset:1248
	;; [unrolled: 1-line block ×5, first 2 shown]
	ds_read_b128 v[50:53], v104
	ds_read_b128 v[54:57], v101
	ds_read_b128 v[58:61], v99 offset:16128
	ds_read_b128 v[62:65], v99
	ds_read_b128 v[66:69], v99 offset:7168
	ds_read_b128 v[70:73], v99 offset:21504
	;; [unrolled: 1-line block ×3, first 2 shown]
	ds_read_b128 v[78:81], v105
	ds_read_b128 v[107:110], v99 offset:12544
	ds_read_b128 v[111:114], v99 offset:8960
	;; [unrolled: 1-line block ×5, first 2 shown]
	ds_read_b128 v[127:130], v106
	ds_read_b128 v[131:134], v99 offset:25088
	s_mov_b32 s7, 0xbfe2cf23
	s_mov_b32 s9, 0x3fe2cf23
	;; [unrolled: 1-line block ×5, first 2 shown]
	s_waitcnt vmcnt(0) lgkmcnt(0)
	s_barrier
	buffer_gl0_inv
	v_mul_f64 v[82:83], v[52:53], v[4:5]
	v_mul_f64 v[4:5], v[50:51], v[4:5]
	;; [unrolled: 1-line block ×24, first 2 shown]
	v_fma_f64 v[50:51], v[50:51], v[2:3], v[82:83]
	v_fma_f64 v[2:3], v[52:53], v[2:3], -v[4:5]
	v_fma_f64 v[4:5], v[54:55], v[14:15], v[135:136]
	v_fma_f64 v[14:15], v[56:57], v[14:15], -v[16:17]
	;; [unrolled: 2-line block ×3, first 2 shown]
	v_fma_f64 v[10:11], v[60:61], v[10:11], -v[12:13]
	v_fma_f64 v[6:7], v[70:71], v[6:7], v[139:140]
	v_fma_f64 v[12:13], v[66:67], v[18:19], v[141:142]
	v_fma_f64 v[18:19], v[68:69], v[18:19], -v[20:21]
	v_fma_f64 v[20:21], v[107:108], v[26:27], v[143:144]
	v_fma_f64 v[26:27], v[109:110], v[26:27], -v[28:29]
	;; [unrolled: 2-line block ×8, first 2 shown]
	v_add_f64 v[48:49], v[62:63], v[50:51]
	v_add_f64 v[58:59], v[50:51], -v[4:5]
	v_add_f64 v[52:53], v[4:5], v[16:17]
	v_add_f64 v[72:73], v[64:65], v[2:3]
	;; [unrolled: 1-line block ×3, first 2 shown]
	v_add_f64 v[60:61], v[6:7], -v[16:17]
	v_add_f64 v[66:67], v[50:51], v[6:7]
	v_add_f64 v[109:110], v[2:3], v[8:9]
	v_add_f64 v[54:55], v[2:3], -v[8:9]
	v_add_f64 v[68:69], v[4:5], -v[50:51]
	;; [unrolled: 1-line block ×7, first 2 shown]
	v_add_f64 v[113:114], v[127:128], v[12:13]
	v_add_f64 v[115:116], v[20:21], v[28:29]
	v_add_f64 v[125:126], v[12:13], v[24:25]
	v_add_f64 v[135:136], v[129:130], v[18:19]
	v_add_f64 v[137:138], v[26:27], v[22:23]
	v_add_f64 v[145:146], v[18:19], v[30:31]
	v_add_f64 v[117:118], v[18:19], -v[30:31]
	v_add_f64 v[121:122], v[12:13], -v[20:21]
	;; [unrolled: 1-line block ×6, first 2 shown]
	v_add_f64 v[149:150], v[78:79], v[32:33]
	v_add_f64 v[151:152], v[36:37], v[40:41]
	;; [unrolled: 1-line block ×6, first 2 shown]
	v_add_f64 v[56:57], v[14:15], -v[10:11]
	v_add_f64 v[50:51], v[50:51], -v[6:7]
	;; [unrolled: 1-line block ×7, first 2 shown]
	v_add_f64 v[4:5], v[48:49], v[4:5]
	v_fma_f64 v[48:49], v[52:53], -0.5, v[62:63]
	v_add_f64 v[52:53], v[58:59], v[60:61]
	v_fma_f64 v[58:59], v[66:67], -0.5, v[62:63]
	;; [unrolled: 2-line block ×3, first 2 shown]
	v_fma_f64 v[64:65], v[109:110], -0.5, v[64:65]
	v_add_f64 v[119:120], v[26:27], -v[22:23]
	v_add_f64 v[131:132], v[20:21], -v[12:13]
	;; [unrolled: 1-line block ×5, first 2 shown]
	v_add_f64 v[60:61], v[68:69], v[70:71]
	v_add_f64 v[66:67], v[82:83], v[107:108]
	v_add_f64 v[68:69], v[2:3], v[111:112]
	v_add_f64 v[2:3], v[113:114], v[20:21]
	v_fma_f64 v[20:21], v[115:116], -0.5, v[127:128]
	v_fma_f64 v[72:73], v[125:126], -0.5, v[127:128]
	v_add_f64 v[26:27], v[135:136], v[26:27]
	v_fma_f64 v[82:83], v[137:138], -0.5, v[129:130]
	v_fma_f64 v[109:110], v[145:146], -0.5, v[129:130]
	v_add_f64 v[155:156], v[38:39], -v[42:43]
	v_add_f64 v[157:158], v[32:33], -v[36:37]
	;; [unrolled: 1-line block ×5, first 2 shown]
	v_add_f64 v[70:71], v[121:122], v[123:124]
	v_add_f64 v[111:112], v[18:19], v[147:148]
	;; [unrolled: 1-line block ×3, first 2 shown]
	v_fma_f64 v[36:37], v[151:152], -0.5, v[78:79]
	v_fma_f64 v[78:79], v[161:162], -0.5, v[78:79]
	v_add_f64 v[38:39], v[167:168], v[38:39]
	v_fma_f64 v[121:122], v[169:170], -0.5, v[80:81]
	v_fma_f64 v[80:81], v[177:178], -0.5, v[80:81]
	v_add_f64 v[125:126], v[34:35], v[179:180]
	v_add_f64 v[4:5], v[4:5], v[16:17]
	v_fma_f64 v[16:17], v[54:55], s[14:15], v[48:49]
	v_fma_f64 v[34:35], v[54:55], s[16:17], v[48:49]
	v_add_f64 v[10:11], v[14:15], v[10:11]
	v_fma_f64 v[14:15], v[50:51], s[16:17], v[62:63]
	v_fma_f64 v[48:49], v[56:57], s[16:17], v[58:59]
	;; [unrolled: 1-line block ×6, first 2 shown]
	v_add_f64 v[143:144], v[30:31], -v[22:23]
	v_add_f64 v[74:75], v[131:132], v[133:134]
	v_fma_f64 v[129:130], v[117:118], s[14:15], v[20:21]
	v_fma_f64 v[20:21], v[117:118], s[16:17], v[20:21]
	;; [unrolled: 1-line block ×4, first 2 shown]
	v_add_f64 v[22:23], v[26:27], v[22:23]
	v_fma_f64 v[26:27], v[12:13], s[16:17], v[82:83]
	v_fma_f64 v[133:134], v[139:140], s[14:15], v[109:110]
	;; [unrolled: 1-line block ×4, first 2 shown]
	v_add_f64 v[159:160], v[44:45], -v[40:41]
	v_add_f64 v[165:166], v[40:41], -v[44:45]
	;; [unrolled: 1-line block ×3, first 2 shown]
	v_add_f64 v[18:19], v[18:19], v[40:41]
	v_fma_f64 v[40:41], v[153:154], s[14:15], v[36:37]
	v_fma_f64 v[135:136], v[155:156], s[16:17], v[78:79]
	v_add_f64 v[38:39], v[38:39], v[42:43]
	v_fma_f64 v[42:43], v[32:33], s[16:17], v[121:122]
	v_fma_f64 v[137:138], v[171:172], s[14:15], v[80:81]
	v_fma_f64 v[78:79], v[155:156], s[14:15], v[78:79]
	v_fma_f64 v[80:81], v[171:172], s[16:17], v[80:81]
	v_fma_f64 v[36:37], v[153:154], s[16:17], v[36:37]
	v_fma_f64 v[121:122], v[32:33], s[14:15], v[121:122]
	v_fma_f64 v[16:17], v[56:57], s[6:7], v[16:17]
	v_fma_f64 v[34:35], v[56:57], s[8:9], v[34:35]
	v_fma_f64 v[56:57], v[76:77], s[8:9], v[14:15]
	v_add_f64 v[28:29], v[2:3], v[28:29]
	v_fma_f64 v[48:49], v[54:55], s[6:7], v[48:49]
	v_fma_f64 v[54:55], v[54:55], s[8:9], v[58:59]
	;; [unrolled: 1-line block ×5, first 2 shown]
	v_add_f64 v[107:108], v[141:142], v[143:144]
	v_fma_f64 v[64:65], v[119:120], s[6:7], v[129:130]
	v_fma_f64 v[76:77], v[119:120], s[8:9], v[20:21]
	;; [unrolled: 1-line block ×8, first 2 shown]
	v_add_f64 v[113:114], v[157:158], v[159:160]
	v_add_f64 v[123:124], v[173:174], v[175:176]
	v_fma_f64 v[129:130], v[155:156], s[6:7], v[40:41]
	v_fma_f64 v[133:134], v[153:154], s[6:7], v[135:136]
	;; [unrolled: 1-line block ×3, first 2 shown]
	v_add_f64 v[115:116], v[163:164], v[165:166]
	v_fma_f64 v[137:138], v[32:33], s[8:9], v[137:138]
	v_fma_f64 v[78:79], v[153:154], s[8:9], v[78:79]
	;; [unrolled: 1-line block ×5, first 2 shown]
	v_add_f64 v[2:3], v[4:5], v[6:7]
	v_add_f64 v[4:5], v[10:11], v[8:9]
	v_fma_f64 v[14:15], v[52:53], s[4:5], v[16:17]
	v_fma_f64 v[16:17], v[66:67], s[4:5], v[56:57]
	v_add_f64 v[6:7], v[28:29], v[24:25]
	v_add_f64 v[8:9], v[22:23], v[30:31]
	v_fma_f64 v[22:23], v[60:61], s[4:5], v[48:49]
	v_fma_f64 v[24:25], v[68:69], s[4:5], v[62:63]
	v_fma_f64 v[26:27], v[60:61], s[4:5], v[54:55]
	v_fma_f64 v[28:29], v[68:69], s[4:5], v[50:51]
	v_add_f64 v[10:11], v[18:19], v[44:45]
	v_fma_f64 v[18:19], v[52:53], s[4:5], v[34:35]
	v_fma_f64 v[20:21], v[66:67], s[4:5], v[58:59]
	v_fma_f64 v[30:31], v[70:71], s[4:5], v[64:65]
	v_fma_f64 v[32:33], v[107:108], s[4:5], v[117:118]
	;; [unrolled: 5-line block ×3, first 2 shown]
	v_fma_f64 v[34:35], v[70:71], s[4:5], v[76:77]
	v_fma_f64 v[36:37], v[107:108], s[4:5], v[82:83]
	;; [unrolled: 1-line block ×10, first 2 shown]
	ds_write_b128 v99, v[2:5]
	ds_write_b128 v99, v[14:17] offset:5376
	ds_write_b128 v99, v[22:25] offset:10752
	ds_write_b128 v99, v[26:29] offset:16128
	ds_write_b128 v99, v[18:21] offset:21504
	ds_write_b128 v106, v[6:9]
	ds_write_b128 v106, v[30:33] offset:5376
	ds_write_b128 v106, v[38:41] offset:10752
	ds_write_b128 v106, v[42:45] offset:16128
	ds_write_b128 v106, v[34:37] offset:21504
	;; [unrolled: 5-line block ×3, first 2 shown]
	s_waitcnt lgkmcnt(0)
	s_barrier
	buffer_gl0_inv
	ds_read_b128 v[4:7], v99
	v_sub_nc_u32_e32 v10, 0, v87
	s_add_u32 s4, s12, 0x68e0
	s_addc_u32 s5, s13, 0
	s_mov_b32 s6, exec_lo
                                        ; implicit-def: $vgpr2_vgpr3
                                        ; implicit-def: $vgpr8_vgpr9
	v_cmpx_ne_u32_e32 0, v86
	s_xor_b32 s6, exec_lo, s6
	s_cbranch_execz .LBB0_33
; %bb.32:
	v_mov_b32_e32 v87, v1
	v_lshlrev_b64 v[0:1], 4, v[86:87]
	v_add_co_u32 v0, s1, s4, v0
	v_add_co_ci_u32_e64 v1, s1, s5, v1, s1
	global_load_dwordx4 v[11:14], v[0:1], off
	ds_read_b128 v[0:3], v10 offset:26880
	s_waitcnt lgkmcnt(0)
	v_add_f64 v[8:9], v[4:5], -v[0:1]
	v_add_f64 v[15:16], v[6:7], v[2:3]
	v_add_f64 v[2:3], v[6:7], -v[2:3]
	v_add_f64 v[0:1], v[4:5], v[0:1]
	v_mul_f64 v[6:7], v[8:9], 0.5
	v_mul_f64 v[4:5], v[15:16], 0.5
	;; [unrolled: 1-line block ×3, first 2 shown]
	s_waitcnt vmcnt(0)
	v_mul_f64 v[8:9], v[6:7], v[13:14]
	v_fma_f64 v[15:16], v[4:5], v[13:14], v[2:3]
	v_fma_f64 v[2:3], v[4:5], v[13:14], -v[2:3]
	v_fma_f64 v[17:18], v[0:1], 0.5, v[8:9]
	v_fma_f64 v[0:1], v[0:1], 0.5, -v[8:9]
	v_fma_f64 v[8:9], -v[11:12], v[6:7], v[15:16]
	v_fma_f64 v[2:3], -v[11:12], v[6:7], v[2:3]
	v_fma_f64 v[13:14], v[4:5], v[11:12], v[17:18]
	v_fma_f64 v[0:1], -v[4:5], v[11:12], v[0:1]
                                        ; implicit-def: $vgpr4_vgpr5
	ds_write_b64 v99, v[13:14]
.LBB0_33:
	s_andn2_saveexec_b32 s1, s6
	s_cbranch_execz .LBB0_35
; %bb.34:
	v_mov_b32_e32 v15, 0
	s_waitcnt lgkmcnt(0)
	v_add_f64 v[13:14], v[4:5], v[6:7]
	v_add_f64 v[0:1], v[4:5], -v[6:7]
	v_mov_b32_e32 v8, 0
	v_mov_b32_e32 v9, 0
	ds_read_b64 v[11:12], v15 offset:13448
	v_mov_b32_e32 v2, v8
	v_mov_b32_e32 v3, v9
	s_waitcnt lgkmcnt(0)
	v_xor_b32_e32 v12, 0x80000000, v12
	ds_write_b64 v99, v[13:14]
	ds_write_b64 v15, v[11:12] offset:13448
.LBB0_35:
	s_or_b32 exec_lo, exec_lo, s1
	v_mov_b32_e32 v92, 0
	ds_write_b64 v99, v[8:9] offset:8
	ds_write_b128 v10, v[0:3] offset:26880
	s_waitcnt lgkmcnt(2)
	v_lshlrev_b64 v[4:5], 4, v[91:92]
	v_mov_b32_e32 v98, v92
	v_lshlrev_b64 v[11:12], 4, v[97:98]
	v_add_co_u32 v4, s1, s4, v4
	v_add_co_ci_u32_e64 v5, s1, s5, v5, s1
	v_mov_b32_e32 v97, v92
	v_add_co_u32 v11, s1, s4, v11
	global_load_dwordx4 v[4:7], v[4:5], off
	v_add_co_ci_u32_e64 v12, s1, s5, v12, s1
	v_lshlrev_b64 v[8:9], 4, v[96:97]
	v_mov_b32_e32 v96, v92
	global_load_dwordx4 v[11:14], v[11:12], off
	ds_read_b128 v[0:3], v106
	ds_read_b128 v[15:18], v10 offset:25088
	v_add_co_u32 v8, s1, s4, v8
	v_add_co_ci_u32_e64 v9, s1, s5, v9, s1
	global_load_dwordx4 v[19:22], v[8:9], off
	s_waitcnt lgkmcnt(0)
	v_add_f64 v[8:9], v[0:1], -v[15:16]
	v_add_f64 v[23:24], v[2:3], v[17:18]
	v_add_f64 v[2:3], v[2:3], -v[17:18]
	v_add_f64 v[0:1], v[0:1], v[15:16]
	v_mul_f64 v[8:9], v[8:9], 0.5
	v_mul_f64 v[17:18], v[23:24], 0.5
	;; [unrolled: 1-line block ×3, first 2 shown]
	s_waitcnt vmcnt(2)
	v_mul_f64 v[15:16], v[8:9], v[6:7]
	v_fma_f64 v[23:24], v[17:18], v[6:7], v[2:3]
	v_fma_f64 v[6:7], v[17:18], v[6:7], -v[2:3]
	v_fma_f64 v[25:26], v[0:1], 0.5, v[15:16]
	v_fma_f64 v[15:16], v[0:1], 0.5, -v[15:16]
	v_fma_f64 v[2:3], -v[4:5], v[8:9], v[23:24]
	v_fma_f64 v[6:7], -v[4:5], v[8:9], v[6:7]
	v_lshlrev_b64 v[8:9], 4, v[95:96]
	v_mov_b32_e32 v95, v92
	v_add_co_u32 v8, s1, s4, v8
	v_add_co_ci_u32_e64 v9, s1, s5, v9, s1
	v_fma_f64 v[0:1], v[17:18], v[4:5], v[25:26]
	v_fma_f64 v[4:5], -v[17:18], v[4:5], v[15:16]
	ds_write_b128 v106, v[0:3]
	ds_write_b128 v10, v[4:7] offset:25088
	ds_read_b128 v[0:3], v105
	ds_read_b128 v[4:7], v10 offset:23296
	global_load_dwordx4 v[15:18], v[8:9], off
	s_waitcnt lgkmcnt(0)
	v_add_f64 v[8:9], v[0:1], -v[4:5]
	v_add_f64 v[23:24], v[2:3], v[6:7]
	v_add_f64 v[2:3], v[2:3], -v[6:7]
	v_add_f64 v[0:1], v[0:1], v[4:5]
	v_mul_f64 v[6:7], v[8:9], 0.5
	v_mul_f64 v[8:9], v[23:24], 0.5
	;; [unrolled: 1-line block ×3, first 2 shown]
	s_waitcnt vmcnt(2)
	v_mul_f64 v[4:5], v[6:7], v[13:14]
	v_fma_f64 v[23:24], v[8:9], v[13:14], v[2:3]
	v_fma_f64 v[13:14], v[8:9], v[13:14], -v[2:3]
	v_fma_f64 v[25:26], v[0:1], 0.5, v[4:5]
	v_fma_f64 v[4:5], v[0:1], 0.5, -v[4:5]
	v_fma_f64 v[2:3], -v[11:12], v[6:7], v[23:24]
	v_fma_f64 v[6:7], -v[11:12], v[6:7], v[13:14]
	v_fma_f64 v[0:1], v[8:9], v[11:12], v[25:26]
	v_fma_f64 v[4:5], -v[8:9], v[11:12], v[4:5]
	v_lshlrev_b64 v[8:9], 4, v[94:95]
	v_mov_b32_e32 v94, v92
	ds_write_b128 v105, v[0:3]
	ds_write_b128 v10, v[4:7] offset:23296
	v_add_co_u32 v8, s1, s4, v8
	ds_read_b128 v[0:3], v104
	ds_read_b128 v[4:7], v10 offset:21504
	v_add_co_ci_u32_e64 v9, s1, s5, v9, s1
	global_load_dwordx4 v[11:14], v[8:9], off
	s_waitcnt lgkmcnt(0)
	v_add_f64 v[8:9], v[0:1], -v[4:5]
	v_add_f64 v[23:24], v[2:3], v[6:7]
	v_add_f64 v[2:3], v[2:3], -v[6:7]
	v_add_f64 v[0:1], v[0:1], v[4:5]
	v_mul_f64 v[6:7], v[8:9], 0.5
	v_mul_f64 v[8:9], v[23:24], 0.5
	;; [unrolled: 1-line block ×3, first 2 shown]
	s_waitcnt vmcnt(2)
	v_mul_f64 v[4:5], v[6:7], v[21:22]
	v_fma_f64 v[23:24], v[8:9], v[21:22], v[2:3]
	v_fma_f64 v[21:22], v[8:9], v[21:22], -v[2:3]
	v_fma_f64 v[25:26], v[0:1], 0.5, v[4:5]
	v_fma_f64 v[4:5], v[0:1], 0.5, -v[4:5]
	v_fma_f64 v[2:3], -v[19:20], v[6:7], v[23:24]
	v_fma_f64 v[6:7], -v[19:20], v[6:7], v[21:22]
	v_fma_f64 v[0:1], v[8:9], v[19:20], v[25:26]
	v_fma_f64 v[4:5], -v[8:9], v[19:20], v[4:5]
	v_lshlrev_b64 v[8:9], 4, v[93:94]
	ds_write_b128 v104, v[0:3]
	ds_write_b128 v10, v[4:7] offset:21504
	v_add_co_u32 v8, s1, s4, v8
	ds_read_b128 v[0:3], v103
	ds_read_b128 v[4:7], v10 offset:19712
	v_add_co_ci_u32_e64 v9, s1, s5, v9, s1
	global_load_dwordx4 v[19:22], v[8:9], off
	s_waitcnt lgkmcnt(0)
	v_add_f64 v[8:9], v[0:1], -v[4:5]
	v_add_f64 v[23:24], v[2:3], v[6:7]
	v_add_f64 v[2:3], v[2:3], -v[6:7]
	v_add_f64 v[0:1], v[0:1], v[4:5]
	v_mul_f64 v[6:7], v[8:9], 0.5
	v_mul_f64 v[8:9], v[23:24], 0.5
	v_mul_f64 v[2:3], v[2:3], 0.5
	s_waitcnt vmcnt(2)
	v_mul_f64 v[4:5], v[6:7], v[17:18]
	v_fma_f64 v[23:24], v[8:9], v[17:18], v[2:3]
	v_fma_f64 v[17:18], v[8:9], v[17:18], -v[2:3]
	v_fma_f64 v[25:26], v[0:1], 0.5, v[4:5]
	v_fma_f64 v[4:5], v[0:1], 0.5, -v[4:5]
	v_fma_f64 v[2:3], -v[15:16], v[6:7], v[23:24]
	v_fma_f64 v[6:7], -v[15:16], v[6:7], v[17:18]
	v_fma_f64 v[0:1], v[8:9], v[15:16], v[25:26]
	v_fma_f64 v[4:5], -v[8:9], v[15:16], v[4:5]
	ds_write_b128 v103, v[0:3]
	ds_write_b128 v10, v[4:7] offset:19712
	ds_read_b128 v[0:3], v102
	ds_read_b128 v[4:7], v10 offset:17920
	s_waitcnt lgkmcnt(0)
	v_add_f64 v[8:9], v[0:1], -v[4:5]
	v_add_f64 v[15:16], v[2:3], v[6:7]
	v_add_f64 v[2:3], v[2:3], -v[6:7]
	v_add_f64 v[0:1], v[0:1], v[4:5]
	v_mul_f64 v[6:7], v[8:9], 0.5
	v_mul_f64 v[8:9], v[15:16], 0.5
	;; [unrolled: 1-line block ×3, first 2 shown]
	s_waitcnt vmcnt(1)
	v_mul_f64 v[4:5], v[6:7], v[13:14]
	v_fma_f64 v[15:16], v[8:9], v[13:14], v[2:3]
	v_fma_f64 v[13:14], v[8:9], v[13:14], -v[2:3]
	v_fma_f64 v[17:18], v[0:1], 0.5, v[4:5]
	v_fma_f64 v[4:5], v[0:1], 0.5, -v[4:5]
	v_fma_f64 v[2:3], -v[11:12], v[6:7], v[15:16]
	v_fma_f64 v[6:7], -v[11:12], v[6:7], v[13:14]
	v_fma_f64 v[0:1], v[8:9], v[11:12], v[17:18]
	v_fma_f64 v[4:5], -v[8:9], v[11:12], v[4:5]
	ds_write_b128 v102, v[0:3]
	ds_write_b128 v10, v[4:7] offset:17920
	ds_read_b128 v[0:3], v101
	ds_read_b128 v[4:7], v10 offset:16128
	s_waitcnt lgkmcnt(0)
	v_add_f64 v[8:9], v[0:1], -v[4:5]
	v_add_f64 v[11:12], v[2:3], v[6:7]
	v_add_f64 v[2:3], v[2:3], -v[6:7]
	v_add_f64 v[0:1], v[0:1], v[4:5]
	v_mul_f64 v[6:7], v[8:9], 0.5
	v_mul_f64 v[8:9], v[11:12], 0.5
	;; [unrolled: 1-line block ×3, first 2 shown]
	s_waitcnt vmcnt(0)
	v_mul_f64 v[4:5], v[6:7], v[21:22]
	v_fma_f64 v[11:12], v[8:9], v[21:22], v[2:3]
	v_fma_f64 v[13:14], v[8:9], v[21:22], -v[2:3]
	v_fma_f64 v[15:16], v[0:1], 0.5, v[4:5]
	v_fma_f64 v[4:5], v[0:1], 0.5, -v[4:5]
	v_fma_f64 v[2:3], -v[19:20], v[6:7], v[11:12]
	v_fma_f64 v[6:7], -v[19:20], v[6:7], v[13:14]
	v_fma_f64 v[0:1], v[8:9], v[19:20], v[15:16]
	v_fma_f64 v[4:5], -v[8:9], v[19:20], v[4:5]
	ds_write_b128 v101, v[0:3]
	ds_write_b128 v10, v[4:7] offset:16128
	s_and_saveexec_b32 s1, s0
	s_cbranch_execz .LBB0_37
; %bb.36:
	v_mov_b32_e32 v91, v92
	v_lshlrev_b64 v[0:1], 4, v[90:91]
	v_add_co_u32 v0, s0, s4, v0
	v_add_co_ci_u32_e64 v1, s0, s5, v1, s0
	global_load_dwordx4 v[0:3], v[0:1], off
	ds_read_b128 v[4:7], v100
	ds_read_b128 v[11:14], v10 offset:14336
	s_waitcnt lgkmcnt(0)
	v_add_f64 v[8:9], v[4:5], -v[11:12]
	v_add_f64 v[15:16], v[6:7], v[13:14]
	v_add_f64 v[6:7], v[6:7], -v[13:14]
	v_add_f64 v[4:5], v[4:5], v[11:12]
	v_mul_f64 v[8:9], v[8:9], 0.5
	v_mul_f64 v[13:14], v[15:16], 0.5
	;; [unrolled: 1-line block ×3, first 2 shown]
	s_waitcnt vmcnt(0)
	v_mul_f64 v[11:12], v[8:9], v[2:3]
	v_fma_f64 v[15:16], v[13:14], v[2:3], v[6:7]
	v_fma_f64 v[2:3], v[13:14], v[2:3], -v[6:7]
	v_fma_f64 v[6:7], v[4:5], 0.5, v[11:12]
	v_fma_f64 v[11:12], v[4:5], 0.5, -v[11:12]
	v_fma_f64 v[4:5], -v[0:1], v[8:9], v[15:16]
	v_fma_f64 v[8:9], -v[0:1], v[8:9], v[2:3]
	v_fma_f64 v[2:3], v[13:14], v[0:1], v[6:7]
	v_fma_f64 v[6:7], -v[13:14], v[0:1], v[11:12]
	ds_write_b128 v100, v[2:5]
	ds_write_b128 v10, v[6:9] offset:14336
.LBB0_37:
	s_or_b32 exec_lo, exec_lo, s1
	s_waitcnt lgkmcnt(0)
	s_barrier
	buffer_gl0_inv
	s_and_saveexec_b32 s0, vcc_lo
	s_cbranch_execz .LBB0_40
; %bb.38:
	v_mul_lo_u32 v2, s3, v88
	v_mul_lo_u32 v3, s2, v89
	v_mad_u64_u32 v[0:1], null, s2, v88, 0
	v_lshl_add_u32 v32, v86, 4, 0
	v_mov_b32_e32 v87, 0
	v_lshlrev_b64 v[10:11], 4, v[84:85]
	v_add_nc_u32_e32 v14, 0x70, v86
	v_add_nc_u32_e32 v16, 0xe0, v86
	v_add_nc_u32_e32 v26, 0x2a0, v86
	v_add3_u32 v1, v1, v3, v2
	ds_read_b128 v[2:5], v32
	ds_read_b128 v[6:9], v32 offset:1792
	v_lshlrev_b64 v[18:19], 4, v[86:87]
	v_mov_b32_e32 v15, v87
	v_mov_b32_e32 v17, v87
	v_lshlrev_b64 v[0:1], 4, v[0:1]
	v_mov_b32_e32 v27, v87
	v_add_nc_u32_e32 v30, 0x310, v86
	v_lshlrev_b64 v[14:15], 4, v[14:15]
	v_lshlrev_b64 v[16:17], 4, v[16:17]
	v_mov_b32_e32 v31, v87
	v_add_co_u32 v0, vcc_lo, s10, v0
	v_add_co_ci_u32_e32 v1, vcc_lo, s11, v1, vcc_lo
	v_lshlrev_b64 v[26:27], 4, v[26:27]
	v_add_co_u32 v0, vcc_lo, v0, v10
	v_add_co_ci_u32_e32 v1, vcc_lo, v1, v11, vcc_lo
	ds_read_b128 v[10:13], v32 offset:3584
	v_add_co_u32 v18, vcc_lo, v0, v18
	v_add_co_ci_u32_e32 v19, vcc_lo, v1, v19, vcc_lo
	s_waitcnt lgkmcnt(2)
	global_store_dwordx4 v[18:19], v[2:5], off
	v_add_co_u32 v2, vcc_lo, v0, v14
	v_add_co_ci_u32_e32 v3, vcc_lo, v1, v15, vcc_lo
	v_add_co_u32 v14, vcc_lo, v0, v16
	v_add_co_ci_u32_e32 v15, vcc_lo, v1, v17, vcc_lo
	v_add_nc_u32_e32 v16, 0x150, v86
	v_mov_b32_e32 v17, v87
	v_add_nc_u32_e32 v18, 0x1c0, v86
	v_mov_b32_e32 v19, v87
	s_waitcnt lgkmcnt(1)
	global_store_dwordx4 v[2:3], v[6:9], off
	ds_read_b128 v[2:5], v32 offset:5376
	s_waitcnt lgkmcnt(1)
	global_store_dwordx4 v[14:15], v[10:13], off
	v_lshlrev_b64 v[14:15], 4, v[16:17]
	v_lshlrev_b64 v[16:17], 4, v[18:19]
	v_add_nc_u32_e32 v18, 0x230, v86
	ds_read_b128 v[6:9], v32 offset:7168
	ds_read_b128 v[10:13], v32 offset:8960
	v_add_co_u32 v22, vcc_lo, v0, v14
	v_lshlrev_b64 v[18:19], 4, v[18:19]
	v_add_co_ci_u32_e32 v23, vcc_lo, v1, v15, vcc_lo
	v_add_co_u32 v24, vcc_lo, v0, v16
	v_add_co_ci_u32_e32 v25, vcc_lo, v1, v17, vcc_lo
	v_add_co_u32 v28, vcc_lo, v0, v18
	ds_read_b128 v[14:17], v32 offset:10752
	v_add_co_ci_u32_e32 v29, vcc_lo, v1, v19, vcc_lo
	ds_read_b128 v[18:21], v32 offset:12544
	s_waitcnt lgkmcnt(4)
	global_store_dwordx4 v[22:23], v[2:5], off
	s_waitcnt lgkmcnt(3)
	global_store_dwordx4 v[24:25], v[6:9], off
	;; [unrolled: 2-line block ×3, first 2 shown]
	v_lshlrev_b64 v[2:3], 4, v[30:31]
	v_add_co_u32 v4, vcc_lo, v0, v26
	v_add_co_ci_u32_e32 v5, vcc_lo, v1, v27, vcc_lo
	v_add_nc_u32_e32 v6, 0x380, v86
	v_add_co_u32 v2, vcc_lo, v0, v2
	v_add_co_ci_u32_e32 v3, vcc_lo, v1, v3, vcc_lo
	v_mov_b32_e32 v7, v87
	v_add_nc_u32_e32 v10, 0x3f0, v86
	v_mov_b32_e32 v11, v87
	s_waitcnt lgkmcnt(1)
	global_store_dwordx4 v[4:5], v[14:17], off
	v_add_nc_u32_e32 v24, 0x620, v86
	v_lshlrev_b64 v[14:15], 4, v[6:7]
	s_waitcnt lgkmcnt(0)
	global_store_dwordx4 v[2:3], v[18:21], off
	ds_read_b128 v[2:5], v32 offset:14336
	ds_read_b128 v[6:9], v32 offset:16128
	v_lshlrev_b64 v[16:17], 4, v[10:11]
	ds_read_b128 v[10:13], v32 offset:17920
	v_add_nc_u32_e32 v18, 0x460, v86
	v_mov_b32_e32 v19, v87
	v_add_co_u32 v14, vcc_lo, v0, v14
	v_add_co_ci_u32_e32 v15, vcc_lo, v1, v15, vcc_lo
	v_lshlrev_b64 v[18:19], 4, v[18:19]
	v_add_co_u32 v16, vcc_lo, v0, v16
	v_add_nc_u32_e32 v20, 0x4d0, v86
	v_mov_b32_e32 v21, v87
	v_add_co_ci_u32_e32 v17, vcc_lo, v1, v17, vcc_lo
	v_add_co_u32 v18, vcc_lo, v0, v18
	s_waitcnt lgkmcnt(2)
	global_store_dwordx4 v[14:15], v[2:5], off
	s_waitcnt lgkmcnt(1)
	global_store_dwordx4 v[16:17], v[6:9], off
	v_lshlrev_b64 v[6:7], 4, v[20:21]
	v_add_co_ci_u32_e32 v19, vcc_lo, v1, v19, vcc_lo
	v_add_nc_u32_e32 v8, 0x540, v86
	v_mov_b32_e32 v9, v87
	v_add_nc_u32_e32 v14, 0x5b0, v86
	s_waitcnt lgkmcnt(0)
	global_store_dwordx4 v[18:19], v[10:13], off
	v_mov_b32_e32 v15, v87
	v_add_co_u32 v18, vcc_lo, v0, v6
	ds_read_b128 v[2:5], v32 offset:19712
	v_add_co_ci_u32_e32 v19, vcc_lo, v1, v7, vcc_lo
	v_lshlrev_b64 v[20:21], 4, v[8:9]
	ds_read_b128 v[6:9], v32 offset:21504
	ds_read_b128 v[10:13], v32 offset:23296
	v_mov_b32_e32 v25, v87
	v_lshlrev_b64 v[22:23], 4, v[14:15]
	ds_read_b128 v[14:17], v32 offset:25088
	v_add_co_u32 v20, vcc_lo, v0, v20
	v_lshlrev_b64 v[24:25], 4, v[24:25]
	v_add_co_ci_u32_e32 v21, vcc_lo, v1, v21, vcc_lo
	v_add_co_u32 v22, vcc_lo, v0, v22
	v_add_co_ci_u32_e32 v23, vcc_lo, v1, v23, vcc_lo
	v_add_co_u32 v24, vcc_lo, v0, v24
	v_add_co_ci_u32_e32 v25, vcc_lo, v1, v25, vcc_lo
	v_cmp_eq_u32_e32 vcc_lo, 0x6f, v86
	s_waitcnt lgkmcnt(3)
	global_store_dwordx4 v[18:19], v[2:5], off
	s_waitcnt lgkmcnt(2)
	global_store_dwordx4 v[20:21], v[6:9], off
	;; [unrolled: 2-line block ×4, first 2 shown]
	s_and_b32 exec_lo, exec_lo, vcc_lo
	s_cbranch_execz .LBB0_40
; %bb.39:
	ds_read_b128 v[2:5], v87 offset:26880
	v_add_co_u32 v0, vcc_lo, 0x6800, v0
	v_add_co_ci_u32_e32 v1, vcc_lo, 0, v1, vcc_lo
	s_waitcnt lgkmcnt(0)
	global_store_dwordx4 v[0:1], v[2:5], off offset:256
.LBB0_40:
	s_endpgm
	.section	.rodata,"a",@progbits
	.p2align	6, 0x0
	.amdhsa_kernel fft_rtc_back_len1680_factors_2_2_2_2_3_7_5_wgs_112_tpt_112_halfLds_dp_op_CI_CI_unitstride_sbrr_R2C_dirReg
		.amdhsa_group_segment_fixed_size 0
		.amdhsa_private_segment_fixed_size 0
		.amdhsa_kernarg_size 104
		.amdhsa_user_sgpr_count 6
		.amdhsa_user_sgpr_private_segment_buffer 1
		.amdhsa_user_sgpr_dispatch_ptr 0
		.amdhsa_user_sgpr_queue_ptr 0
		.amdhsa_user_sgpr_kernarg_segment_ptr 1
		.amdhsa_user_sgpr_dispatch_id 0
		.amdhsa_user_sgpr_flat_scratch_init 0
		.amdhsa_user_sgpr_private_segment_size 0
		.amdhsa_wavefront_size32 1
		.amdhsa_uses_dynamic_stack 0
		.amdhsa_system_sgpr_private_segment_wavefront_offset 0
		.amdhsa_system_sgpr_workgroup_id_x 1
		.amdhsa_system_sgpr_workgroup_id_y 0
		.amdhsa_system_sgpr_workgroup_id_z 0
		.amdhsa_system_sgpr_workgroup_info 0
		.amdhsa_system_vgpr_workitem_id 0
		.amdhsa_next_free_vgpr 183
		.amdhsa_next_free_sgpr 29
		.amdhsa_reserve_vcc 1
		.amdhsa_reserve_flat_scratch 0
		.amdhsa_float_round_mode_32 0
		.amdhsa_float_round_mode_16_64 0
		.amdhsa_float_denorm_mode_32 3
		.amdhsa_float_denorm_mode_16_64 3
		.amdhsa_dx10_clamp 1
		.amdhsa_ieee_mode 1
		.amdhsa_fp16_overflow 0
		.amdhsa_workgroup_processor_mode 1
		.amdhsa_memory_ordered 1
		.amdhsa_forward_progress 0
		.amdhsa_shared_vgpr_count 0
		.amdhsa_exception_fp_ieee_invalid_op 0
		.amdhsa_exception_fp_denorm_src 0
		.amdhsa_exception_fp_ieee_div_zero 0
		.amdhsa_exception_fp_ieee_overflow 0
		.amdhsa_exception_fp_ieee_underflow 0
		.amdhsa_exception_fp_ieee_inexact 0
		.amdhsa_exception_int_div_zero 0
	.end_amdhsa_kernel
	.text
.Lfunc_end0:
	.size	fft_rtc_back_len1680_factors_2_2_2_2_3_7_5_wgs_112_tpt_112_halfLds_dp_op_CI_CI_unitstride_sbrr_R2C_dirReg, .Lfunc_end0-fft_rtc_back_len1680_factors_2_2_2_2_3_7_5_wgs_112_tpt_112_halfLds_dp_op_CI_CI_unitstride_sbrr_R2C_dirReg
                                        ; -- End function
	.section	.AMDGPU.csdata,"",@progbits
; Kernel info:
; codeLenInByte = 15680
; NumSgprs: 31
; NumVgprs: 183
; ScratchSize: 0
; MemoryBound: 0
; FloatMode: 240
; IeeeMode: 1
; LDSByteSize: 0 bytes/workgroup (compile time only)
; SGPRBlocks: 3
; VGPRBlocks: 22
; NumSGPRsForWavesPerEU: 31
; NumVGPRsForWavesPerEU: 183
; Occupancy: 5
; WaveLimiterHint : 1
; COMPUTE_PGM_RSRC2:SCRATCH_EN: 0
; COMPUTE_PGM_RSRC2:USER_SGPR: 6
; COMPUTE_PGM_RSRC2:TRAP_HANDLER: 0
; COMPUTE_PGM_RSRC2:TGID_X_EN: 1
; COMPUTE_PGM_RSRC2:TGID_Y_EN: 0
; COMPUTE_PGM_RSRC2:TGID_Z_EN: 0
; COMPUTE_PGM_RSRC2:TIDIG_COMP_CNT: 0
	.text
	.p2alignl 6, 3214868480
	.fill 48, 4, 3214868480
	.type	__hip_cuid_1963fb69fa8976bb,@object ; @__hip_cuid_1963fb69fa8976bb
	.section	.bss,"aw",@nobits
	.globl	__hip_cuid_1963fb69fa8976bb
__hip_cuid_1963fb69fa8976bb:
	.byte	0                               ; 0x0
	.size	__hip_cuid_1963fb69fa8976bb, 1

	.ident	"AMD clang version 19.0.0git (https://github.com/RadeonOpenCompute/llvm-project roc-6.4.0 25133 c7fe45cf4b819c5991fe208aaa96edf142730f1d)"
	.section	".note.GNU-stack","",@progbits
	.addrsig
	.addrsig_sym __hip_cuid_1963fb69fa8976bb
	.amdgpu_metadata
---
amdhsa.kernels:
  - .args:
      - .actual_access:  read_only
        .address_space:  global
        .offset:         0
        .size:           8
        .value_kind:     global_buffer
      - .offset:         8
        .size:           8
        .value_kind:     by_value
      - .actual_access:  read_only
        .address_space:  global
        .offset:         16
        .size:           8
        .value_kind:     global_buffer
      - .actual_access:  read_only
        .address_space:  global
        .offset:         24
        .size:           8
        .value_kind:     global_buffer
      - .actual_access:  read_only
        .address_space:  global
        .offset:         32
        .size:           8
        .value_kind:     global_buffer
      - .offset:         40
        .size:           8
        .value_kind:     by_value
      - .actual_access:  read_only
        .address_space:  global
        .offset:         48
        .size:           8
        .value_kind:     global_buffer
      - .actual_access:  read_only
        .address_space:  global
        .offset:         56
        .size:           8
        .value_kind:     global_buffer
      - .offset:         64
        .size:           4
        .value_kind:     by_value
      - .actual_access:  read_only
        .address_space:  global
        .offset:         72
        .size:           8
        .value_kind:     global_buffer
      - .actual_access:  read_only
        .address_space:  global
        .offset:         80
        .size:           8
        .value_kind:     global_buffer
      - .actual_access:  read_only
        .address_space:  global
        .offset:         88
        .size:           8
        .value_kind:     global_buffer
      - .actual_access:  write_only
        .address_space:  global
        .offset:         96
        .size:           8
        .value_kind:     global_buffer
    .group_segment_fixed_size: 0
    .kernarg_segment_align: 8
    .kernarg_segment_size: 104
    .language:       OpenCL C
    .language_version:
      - 2
      - 0
    .max_flat_workgroup_size: 112
    .name:           fft_rtc_back_len1680_factors_2_2_2_2_3_7_5_wgs_112_tpt_112_halfLds_dp_op_CI_CI_unitstride_sbrr_R2C_dirReg
    .private_segment_fixed_size: 0
    .sgpr_count:     31
    .sgpr_spill_count: 0
    .symbol:         fft_rtc_back_len1680_factors_2_2_2_2_3_7_5_wgs_112_tpt_112_halfLds_dp_op_CI_CI_unitstride_sbrr_R2C_dirReg.kd
    .uniform_work_group_size: 1
    .uses_dynamic_stack: false
    .vgpr_count:     183
    .vgpr_spill_count: 0
    .wavefront_size: 32
    .workgroup_processor_mode: 1
amdhsa.target:   amdgcn-amd-amdhsa--gfx1030
amdhsa.version:
  - 1
  - 2
...

	.end_amdgpu_metadata
